;; amdgpu-corpus repo=zjin-lcf/HeCBench kind=compiled arch=gfx950 opt=O3
	.amdgcn_target "amdgcn-amd-amdhsa--gfx950"
	.amdhsa_code_object_version 6
	.text
	.protected	_Z9fft1D_512P15HIP_vector_typeIdLj2EE ; -- Begin function _Z9fft1D_512P15HIP_vector_typeIdLj2EE
	.globl	_Z9fft1D_512P15HIP_vector_typeIdLj2EE
	.p2align	8
	.type	_Z9fft1D_512P15HIP_vector_typeIdLj2EE,@function
_Z9fft1D_512P15HIP_vector_typeIdLj2EE:  ; @_Z9fft1D_512P15HIP_vector_typeIdLj2EE
; %bb.0:
	s_load_dwordx2 s[0:1], s[0:1], 0x0
	v_lshl_add_u32 v2, s2, 9, v0
	v_ashrrev_i32_e32 v3, 31, v2
	v_cvt_f64_u32_e32 v[62:63], v0
	s_mov_b32 s5, 0xbfa921fb
	s_waitcnt lgkmcnt(0)
	v_lshl_add_u64 v[2:3], v[2:3], 4, s[0:1]
	v_add_co_u32_e32 v36, vcc, 0x1000, v2
	global_load_dwordx4 v[24:27], v[2:3], off
	global_load_dwordx4 v[16:19], v[2:3], off offset:1024
	global_load_dwordx4 v[12:15], v[2:3], off offset:2048
	;; [unrolled: 1-line block ×3, first 2 shown]
	v_addc_co_u32_e32 v37, vcc, 0, v3, vcc
	scratch_store_dwordx2 off, v[2:3], off  ; 8-byte Folded Spill
	global_load_dwordx4 v[28:31], v[36:37], off
	global_load_dwordx4 v[124:127], v[36:37], off offset:1024
	s_nop 0
	global_load_dwordx4 v[2:5], v[36:37], off offset:2048
	global_load_dwordx4 v[32:35], v[36:37], off offset:3072
	s_mov_b32 s4, 0x54442d18
	s_mov_b32 s0, 0
                                        ; kill: killed $vgpr36 killed $vgpr37
	v_mul_f64 v[36:37], v[62:63], s[4:5]
	s_mov_b32 s1, 0x41d00000
	v_cmp_nlt_f64_e64 s[2:3], |v[36:37]|, s[0:1]
	v_trig_preop_f64 v[50:51], |v[36:37]|, 0
	v_trig_preop_f64 v[48:49], |v[36:37]|, 1
	;; [unrolled: 1-line block ×3, first 2 shown]
                                        ; implicit-def: $vgpr1
                                        ; kill: killed $vgpr1
	s_waitcnt vmcnt(1)
	scratch_store_dwordx4 off, v[2:5], off offset:28 ; 16-byte Folded Spill
                                        ; implicit-def: $vgpr2_vgpr3
                                        ; kill: killed $vgpr2_vgpr3
                                        ; implicit-def: $vgpr2_vgpr3
                                        ; kill: killed $vgpr2_vgpr3
	s_and_saveexec_b64 s[0:1], s[2:3]
	s_xor_b64 s[6:7], exec, s[0:1]
	s_cbranch_execz .LBB0_2
; %bb.1:
	s_mov_b32 s0, 0
	s_mov_b32 s1, 0x7b000000
	s_movk_i32 s5, 0xff80
	v_and_b32_e32 v1, 0x7fffffff, v37
	v_ldexp_f64 v[38:39], |v[36:37]|, s5
	v_cmp_ge_f64_e64 vcc, |v[36:37]|, s[0:1]
	s_mov_b32 s0, 0
	s_mov_b32 s1, 0x7ff00000
	v_cndmask_b32_e32 v39, v1, v39, vcc
	v_cndmask_b32_e32 v38, v36, v38, vcc
	v_mul_f64 v[42:43], v[50:51], v[38:39]
	v_mul_f64 v[40:41], v[48:49], v[38:39]
	v_fma_f64 v[44:45], v[50:51], v[38:39], -v[42:43]
	v_add_f64 v[52:53], v[40:41], v[44:45]
	v_add_f64 v[60:61], v[52:53], -v[40:41]
	v_add_f64 v[44:45], v[44:45], -v[60:61]
	;; [unrolled: 1-line block ×4, first 2 shown]
	v_add_f64 v[44:45], v[44:45], v[60:61]
	v_fma_f64 v[40:41], v[48:49], v[38:39], -v[40:41]
	v_mul_f64 v[60:61], v[46:47], v[38:39]
	v_add_f64 v[64:65], v[60:61], v[40:41]
	v_add_f64 v[54:55], v[42:43], v[52:53]
	;; [unrolled: 1-line block ×3, first 2 shown]
	v_ldexp_f64 v[56:57], v[54:55], -2
	v_add_f64 v[42:43], v[54:55], -v[42:43]
	v_add_f64 v[54:55], v[66:67], -v[64:65]
	;; [unrolled: 1-line block ×5, first 2 shown]
	v_add_f64 v[44:45], v[44:45], v[54:55]
	v_add_f64 v[54:55], v[64:65], -v[60:61]
	v_add_f64 v[40:41], v[40:41], -v[54:55]
	;; [unrolled: 1-line block ×5, first 2 shown]
	v_add_f64 v[40:41], v[40:41], v[54:55]
	v_fract_f64_e32 v[58:59], v[56:57]
	v_add_f64 v[52:53], v[42:43], v[66:67]
	v_add_f64 v[40:41], v[40:41], v[44:45]
	v_fma_f64 v[38:39], v[46:47], v[38:39], -v[60:61]
	v_add_f64 v[42:43], v[52:53], -v[42:43]
	v_add_f64 v[38:39], v[38:39], v[40:41]
	v_ldexp_f64 v[40:41], v[58:59], 2
	v_cmp_neq_f64_e64 vcc, |v[56:57]|, s[0:1]
	v_add_f64 v[42:43], v[66:67], -v[42:43]
	v_add_f64 v[38:39], v[42:43], v[38:39]
	v_cndmask_b32_e32 v41, 0, v41, vcc
	v_cndmask_b32_e32 v40, 0, v40, vcc
	v_add_f64 v[42:43], v[52:53], v[40:41]
	v_mov_b32_e32 v1, 0x40100000
	v_cmp_gt_f64_e32 vcc, 0, v[42:43]
	v_mov_b32_e32 v42, 0
	s_mov_b32 s5, 0x3ff921fb
	v_cndmask_b32_e32 v43, 0, v1, vcc
	v_add_f64 v[40:41], v[40:41], v[42:43]
	v_add_f64 v[44:45], v[52:53], v[40:41]
	v_cvt_i32_f64_e32 v1, v[44:45]
	v_cvt_f64_i32_e32 v[44:45], v1
	v_add_f64 v[40:41], v[40:41], -v[44:45]
	v_add_f64 v[44:45], v[52:53], v[40:41]
	v_cmp_le_f64_e32 vcc, 0.5, v[44:45]
	v_add_f64 v[40:41], v[44:45], -v[40:41]
	v_add_f64 v[40:41], v[52:53], -v[40:41]
	v_addc_co_u32_e64 v1, s[0:1], 0, v1, vcc
	scratch_store_dword off, v1, off offset:8 ; 4-byte Folded Spill
	v_mov_b32_e32 v1, 0x3ff00000
	v_cndmask_b32_e32 v43, 0, v1, vcc
	v_add_f64 v[38:39], v[38:39], v[40:41]
	v_add_f64 v[40:41], v[44:45], -v[42:43]
	v_add_f64 v[42:43], v[40:41], v[38:39]
	v_add_f64 v[40:41], v[42:43], -v[40:41]
	v_add_f64 v[38:39], v[38:39], -v[40:41]
	v_mul_f64 v[40:41], v[42:43], s[4:5]
	s_mov_b32 s0, 0x33145c07
	v_fma_f64 v[44:45], v[42:43], s[4:5], -v[40:41]
	s_mov_b32 s1, 0x3c91a626
	v_fmac_f64_e32 v[44:45], s[0:1], v[42:43]
	v_fmac_f64_e32 v[44:45], s[4:5], v[38:39]
	v_add_f64 v[2:3], v[40:41], v[44:45]
	v_add_f64 v[40:41], v[2:3], -v[40:41]
	scratch_store_dwordx2 off, v[2:3], off offset:20 ; 8-byte Folded Spill
	v_add_f64 v[2:3], v[44:45], -v[40:41]
	scratch_store_dwordx2 off, v[2:3], off offset:12 ; 8-byte Folded Spill
	s_andn2_saveexec_b64 s[0:1], s[6:7]
	s_cbranch_execz .LBB0_4
	s_branch .LBB0_3
.LBB0_2:
	s_andn2_saveexec_b64 s[0:1], s[6:7]
	s_cbranch_execz .LBB0_4
.LBB0_3:
	s_mov_b32 s4, 0x6dc9c883
	s_mov_b32 s5, 0x3fe45f30
	v_mul_f64 v[38:39], |v[36:37]|, s[4:5]
	s_mov_b32 s4, 0x54442d18
	v_rndne_f64_e32 v[40:41], v[38:39]
	s_mov_b32 s5, 0xbff921fb
	v_fma_f64 v[38:39], v[40:41], s[4:5], |v[36:37]|
	s_mov_b32 s5, 0xbc91a626
	s_mov_b32 s4, 0x33145c00
	v_mul_f64 v[44:45], v[40:41], s[4:5]
	v_add_f64 v[54:55], v[38:39], v[44:45]
	v_fma_f64 v[42:43], s[4:5], v[40:41], v[38:39]
	s_mov_b32 s5, 0x3c91a626
	v_add_f64 v[38:39], v[38:39], -v[54:55]
	v_fma_f64 v[52:53], s[4:5], v[40:41], v[44:45]
	v_add_f64 v[38:39], v[38:39], v[44:45]
	v_add_f64 v[44:45], v[54:55], -v[42:43]
	v_add_f64 v[38:39], v[44:45], v[38:39]
	s_mov_b32 s4, 0x252049c0
	v_add_f64 v[44:45], v[38:39], -v[52:53]
	s_mov_b32 s5, 0xb97b839a
	v_fmac_f64_e32 v[44:45], s[4:5], v[40:41]
	v_add_f64 v[2:3], v[42:43], v[44:45]
	v_add_f64 v[42:43], v[2:3], -v[42:43]
	scratch_store_dwordx2 off, v[2:3], off offset:20 ; 8-byte Folded Spill
	v_add_f64 v[2:3], v[44:45], -v[42:43]
	v_cvt_i32_f64_e32 v1, v[40:41]
	scratch_store_dwordx2 off, v[2:3], off offset:12 ; 8-byte Folded Spill
	scratch_store_dword off, v1, off offset:8 ; 4-byte Folded Spill
.LBB0_4:
	s_or_b64 exec, exec, s[0:1]
                                        ; implicit-def: $vgpr2_vgpr3
                                        ; implicit-def: $vgpr1
                                        ; kill: killed $vgpr1
                                        ; kill: killed $vgpr2_vgpr3
                                        ; implicit-def: $vgpr2_vgpr3
                                        ; kill: killed $vgpr2_vgpr3
	s_and_saveexec_b64 s[0:1], s[2:3]
	s_xor_b64 s[2:3], exec, s[0:1]
	s_cbranch_execz .LBB0_6
; %bb.5:
	s_mov_b32 s0, 0
	s_mov_b32 s1, 0x7b000000
	s_movk_i32 s4, 0xff80
	v_and_b32_e32 v1, 0x7fffffff, v37
	v_ldexp_f64 v[40:41], |v[36:37]|, s4
	v_cmp_ge_f64_e64 vcc, |v[36:37]|, s[0:1]
	s_mov_b32 s0, 0
	s_mov_b32 s1, 0x7ff00000
	v_cndmask_b32_e32 v41, v1, v41, vcc
	v_cndmask_b32_e32 v40, v36, v40, vcc
	v_mul_f64 v[44:45], v[50:51], v[40:41]
	v_mul_f64 v[42:43], v[48:49], v[40:41]
	v_fma_f64 v[50:51], v[50:51], v[40:41], -v[44:45]
	v_add_f64 v[52:53], v[42:43], v[50:51]
	v_add_f64 v[60:61], v[52:53], -v[42:43]
	v_add_f64 v[50:51], v[50:51], -v[60:61]
	;; [unrolled: 1-line block ×4, first 2 shown]
	v_fma_f64 v[42:43], v[48:49], v[40:41], -v[42:43]
	v_mul_f64 v[48:49], v[46:47], v[40:41]
	v_add_f64 v[50:51], v[50:51], v[60:61]
	v_add_f64 v[60:61], v[48:49], v[42:43]
	;; [unrolled: 1-line block ×4, first 2 shown]
	v_ldexp_f64 v[56:57], v[54:55], -2
	v_add_f64 v[44:45], v[54:55], -v[44:45]
	v_add_f64 v[54:55], v[64:65], -v[60:61]
	v_add_f64 v[50:51], v[50:51], -v[54:55]
	v_add_f64 v[54:55], v[64:65], -v[54:55]
	v_add_f64 v[54:55], v[60:61], -v[54:55]
	v_add_f64 v[50:51], v[50:51], v[54:55]
	v_add_f64 v[54:55], v[60:61], -v[48:49]
	v_add_f64 v[42:43], v[42:43], -v[54:55]
	;; [unrolled: 1-line block ×5, first 2 shown]
	v_add_f64 v[42:43], v[42:43], v[54:55]
	v_fract_f64_e32 v[58:59], v[56:57]
	v_add_f64 v[52:53], v[44:45], v[64:65]
	v_add_f64 v[42:43], v[42:43], v[50:51]
	v_fma_f64 v[40:41], v[46:47], v[40:41], -v[48:49]
	v_add_f64 v[44:45], v[52:53], -v[44:45]
	v_add_f64 v[40:41], v[40:41], v[42:43]
	v_ldexp_f64 v[42:43], v[58:59], 2
	v_cmp_neq_f64_e64 vcc, |v[56:57]|, s[0:1]
	v_add_f64 v[44:45], v[64:65], -v[44:45]
	v_add_f64 v[40:41], v[44:45], v[40:41]
	v_cndmask_b32_e32 v43, 0, v43, vcc
	v_cndmask_b32_e32 v42, 0, v42, vcc
	v_add_f64 v[44:45], v[52:53], v[42:43]
	v_mov_b32_e32 v1, 0x40100000
	v_cmp_gt_f64_e32 vcc, 0, v[44:45]
	v_mov_b32_e32 v44, 0
	s_mov_b32 s4, 0x33145c07
	v_cndmask_b32_e32 v45, 0, v1, vcc
	v_add_f64 v[42:43], v[42:43], v[44:45]
	v_add_f64 v[46:47], v[52:53], v[42:43]
	v_cvt_i32_f64_e32 v1, v[46:47]
	v_cvt_f64_i32_e32 v[46:47], v1
	v_add_f64 v[42:43], v[42:43], -v[46:47]
	v_add_f64 v[46:47], v[52:53], v[42:43]
	v_cmp_le_f64_e32 vcc, 0.5, v[46:47]
	v_add_f64 v[42:43], v[46:47], -v[42:43]
	v_add_f64 v[42:43], v[52:53], -v[42:43]
	v_addc_co_u32_e64 v1, s[0:1], 0, v1, vcc
	scratch_store_dword off, v1, off offset:44 ; 4-byte Folded Spill
	v_mov_b32_e32 v1, 0x3ff00000
	v_cndmask_b32_e32 v45, 0, v1, vcc
	v_add_f64 v[40:41], v[40:41], v[42:43]
	v_add_f64 v[42:43], v[46:47], -v[44:45]
	s_mov_b32 s0, 0x54442d18
	v_add_f64 v[44:45], v[42:43], v[40:41]
	s_mov_b32 s1, 0x3ff921fb
	v_mul_f64 v[46:47], v[44:45], s[0:1]
	v_add_f64 v[42:43], v[44:45], -v[42:43]
	v_fma_f64 v[48:49], v[44:45], s[0:1], -v[46:47]
	s_mov_b32 s5, 0x3c91a626
	v_add_f64 v[40:41], v[40:41], -v[42:43]
	v_fmac_f64_e32 v[48:49], s[4:5], v[44:45]
	v_fmac_f64_e32 v[48:49], s[0:1], v[40:41]
	v_add_f64 v[2:3], v[46:47], v[48:49]
	v_add_f64 v[40:41], v[2:3], -v[46:47]
	scratch_store_dwordx2 off, v[2:3], off offset:52 ; 8-byte Folded Spill
	v_add_f64 v[2:3], v[48:49], -v[40:41]
	scratch_store_dwordx2 off, v[2:3], off offset:60 ; 8-byte Folded Spill
	s_andn2_saveexec_b64 s[0:1], s[2:3]
	s_cbranch_execnz .LBB0_7
	s_branch .LBB0_8
.LBB0_6:
	s_andn2_saveexec_b64 s[0:1], s[2:3]
	s_cbranch_execz .LBB0_8
.LBB0_7:
	s_mov_b32 s2, 0x6dc9c883
	s_mov_b32 s3, 0x3fe45f30
	v_mul_f64 v[40:41], |v[36:37]|, s[2:3]
	s_mov_b32 s2, 0x54442d18
	v_rndne_f64_e32 v[40:41], v[40:41]
	s_mov_b32 s3, 0xbff921fb
	v_fma_f64 v[42:43], v[40:41], s[2:3], |v[36:37]|
	s_mov_b32 s3, 0xbc91a626
	s_mov_b32 s2, 0x33145c00
	v_mul_f64 v[46:47], v[40:41], s[2:3]
	v_add_f64 v[50:51], v[42:43], v[46:47]
	v_fma_f64 v[44:45], s[2:3], v[40:41], v[42:43]
	s_mov_b32 s3, 0x3c91a626
	v_add_f64 v[42:43], v[42:43], -v[50:51]
	v_fma_f64 v[48:49], s[2:3], v[40:41], v[46:47]
	v_add_f64 v[42:43], v[42:43], v[46:47]
	v_add_f64 v[46:47], v[50:51], -v[44:45]
	v_add_f64 v[42:43], v[46:47], v[42:43]
	s_mov_b32 s2, 0x252049c0
	v_add_f64 v[46:47], v[42:43], -v[48:49]
	s_mov_b32 s3, 0xb97b839a
	v_fmac_f64_e32 v[46:47], s[2:3], v[40:41]
	v_add_f64 v[2:3], v[44:45], v[46:47]
	v_add_f64 v[44:45], v[2:3], -v[44:45]
	scratch_store_dwordx2 off, v[2:3], off offset:52 ; 8-byte Folded Spill
	v_add_f64 v[2:3], v[46:47], -v[44:45]
	v_cvt_i32_f64_e32 v1, v[40:41]
	scratch_store_dwordx2 off, v[2:3], off offset:60 ; 8-byte Folded Spill
	scratch_store_dword off, v1, off offset:44 ; 4-byte Folded Spill
.LBB0_8:
	s_or_b64 exec, exec, s[0:1]
	s_mov_b32 s5, 0xbf9921fb
	s_mov_b32 s4, 0x54442d18
	;; [unrolled: 1-line block ×3, first 2 shown]
	v_mul_f64 v[46:47], v[62:63], s[4:5]
	s_mov_b32 s1, 0x41d00000
	v_cmp_nlt_f64_e64 s[2:3], |v[46:47]|, s[0:1]
	v_trig_preop_f64 v[60:61], |v[46:47]|, 0
	v_trig_preop_f64 v[58:59], |v[46:47]|, 1
	v_trig_preop_f64 v[56:57], |v[46:47]|, 2
                                        ; implicit-def: $vgpr2_vgpr3
                                        ; implicit-def: $vgpr1
                                        ; kill: killed $vgpr1
                                        ; kill: killed $vgpr2_vgpr3
                                        ; implicit-def: $vgpr2_vgpr3
                                        ; kill: killed $vgpr2_vgpr3
	s_and_saveexec_b64 s[0:1], s[2:3]
	s_xor_b64 s[6:7], exec, s[0:1]
	s_cbranch_execz .LBB0_10
; %bb.9:
	s_mov_b32 s0, 0
	s_mov_b32 s1, 0x7b000000
	s_movk_i32 s5, 0xff80
	v_and_b32_e32 v1, 0x7fffffff, v47
	v_ldexp_f64 v[40:41], |v[46:47]|, s5
	v_cmp_ge_f64_e64 vcc, |v[46:47]|, s[0:1]
	s_mov_b32 s0, 0
	s_mov_b32 s1, 0x7ff00000
	v_cndmask_b32_e32 v41, v1, v41, vcc
	v_cndmask_b32_e32 v40, v46, v40, vcc
	v_mul_f64 v[48:49], v[60:61], v[40:41]
	v_mul_f64 v[44:45], v[58:59], v[40:41]
	v_fma_f64 v[50:51], v[60:61], v[40:41], -v[48:49]
	v_add_f64 v[52:53], v[44:45], v[50:51]
	v_add_f64 v[68:69], v[52:53], -v[44:45]
	v_add_f64 v[50:51], v[50:51], -v[68:69]
	;; [unrolled: 1-line block ×4, first 2 shown]
	v_add_f64 v[50:51], v[50:51], v[68:69]
	v_fma_f64 v[44:45], v[58:59], v[40:41], -v[44:45]
	v_mul_f64 v[68:69], v[56:57], v[40:41]
	v_add_f64 v[70:71], v[68:69], v[44:45]
	v_add_f64 v[54:55], v[48:49], v[52:53]
	;; [unrolled: 1-line block ×3, first 2 shown]
	v_ldexp_f64 v[64:65], v[54:55], -2
	v_add_f64 v[48:49], v[54:55], -v[48:49]
	v_add_f64 v[54:55], v[72:73], -v[70:71]
	;; [unrolled: 1-line block ×5, first 2 shown]
	v_add_f64 v[50:51], v[50:51], v[54:55]
	v_add_f64 v[54:55], v[70:71], -v[68:69]
	v_add_f64 v[44:45], v[44:45], -v[54:55]
	v_add_f64 v[54:55], v[70:71], -v[54:55]
	v_add_f64 v[54:55], v[68:69], -v[54:55]
	v_add_f64 v[48:49], v[52:53], -v[48:49]
	v_add_f64 v[44:45], v[44:45], v[54:55]
	v_fract_f64_e32 v[66:67], v[64:65]
	v_add_f64 v[52:53], v[48:49], v[72:73]
	v_add_f64 v[44:45], v[44:45], v[50:51]
	v_fma_f64 v[40:41], v[56:57], v[40:41], -v[68:69]
	v_add_f64 v[48:49], v[52:53], -v[48:49]
	v_add_f64 v[40:41], v[40:41], v[44:45]
	v_ldexp_f64 v[44:45], v[66:67], 2
	v_cmp_neq_f64_e64 vcc, |v[64:65]|, s[0:1]
	v_add_f64 v[48:49], v[72:73], -v[48:49]
	v_add_f64 v[40:41], v[48:49], v[40:41]
	v_cndmask_b32_e32 v45, 0, v45, vcc
	v_cndmask_b32_e32 v44, 0, v44, vcc
	v_add_f64 v[48:49], v[52:53], v[44:45]
	v_mov_b32_e32 v1, 0x40100000
	v_cmp_gt_f64_e32 vcc, 0, v[48:49]
	v_mov_b32_e32 v48, 0
	s_mov_b32 s5, 0x3ff921fb
	v_cndmask_b32_e32 v49, 0, v1, vcc
	v_add_f64 v[44:45], v[44:45], v[48:49]
	v_add_f64 v[50:51], v[52:53], v[44:45]
	v_cvt_i32_f64_e32 v1, v[50:51]
	v_cvt_f64_i32_e32 v[50:51], v1
	v_add_f64 v[44:45], v[44:45], -v[50:51]
	v_add_f64 v[50:51], v[52:53], v[44:45]
	v_cmp_le_f64_e32 vcc, 0.5, v[50:51]
	v_add_f64 v[44:45], v[50:51], -v[44:45]
	v_add_f64 v[44:45], v[52:53], -v[44:45]
	v_addc_co_u32_e64 v1, s[0:1], 0, v1, vcc
	scratch_store_dword off, v1, off offset:76 ; 4-byte Folded Spill
	v_mov_b32_e32 v1, 0x3ff00000
	v_cndmask_b32_e32 v49, 0, v1, vcc
	v_add_f64 v[40:41], v[40:41], v[44:45]
	v_add_f64 v[44:45], v[50:51], -v[48:49]
	v_add_f64 v[48:49], v[44:45], v[40:41]
	v_add_f64 v[44:45], v[48:49], -v[44:45]
	v_add_f64 v[40:41], v[40:41], -v[44:45]
	v_mul_f64 v[44:45], v[48:49], s[4:5]
	s_mov_b32 s0, 0x33145c07
	v_fma_f64 v[50:51], v[48:49], s[4:5], -v[44:45]
	s_mov_b32 s1, 0x3c91a626
	v_fmac_f64_e32 v[50:51], s[0:1], v[48:49]
	v_fmac_f64_e32 v[50:51], s[4:5], v[40:41]
	v_add_f64 v[2:3], v[44:45], v[50:51]
	v_add_f64 v[40:41], v[2:3], -v[44:45]
	scratch_store_dwordx2 off, v[2:3], off offset:84 ; 8-byte Folded Spill
	v_add_f64 v[2:3], v[50:51], -v[40:41]
	scratch_store_dwordx2 off, v[2:3], off offset:92 ; 8-byte Folded Spill
	s_andn2_saveexec_b64 s[0:1], s[6:7]
	s_cbranch_execz .LBB0_12
	s_branch .LBB0_11
.LBB0_10:
	s_andn2_saveexec_b64 s[0:1], s[6:7]
	s_cbranch_execz .LBB0_12
.LBB0_11:
	s_mov_b32 s4, 0x6dc9c883
	s_mov_b32 s5, 0x3fe45f30
	v_mul_f64 v[40:41], |v[46:47]|, s[4:5]
	s_mov_b32 s4, 0x54442d18
	v_rndne_f64_e32 v[40:41], v[40:41]
	s_mov_b32 s5, 0xbff921fb
	v_fma_f64 v[44:45], v[40:41], s[4:5], |v[46:47]|
	s_mov_b32 s5, 0xbc91a626
	s_mov_b32 s4, 0x33145c00
	v_mul_f64 v[48:49], v[40:41], s[4:5]
	v_add_f64 v[54:55], v[44:45], v[48:49]
	v_fma_f64 v[50:51], s[4:5], v[40:41], v[44:45]
	s_mov_b32 s5, 0x3c91a626
	v_add_f64 v[44:45], v[44:45], -v[54:55]
	v_fma_f64 v[52:53], s[4:5], v[40:41], v[48:49]
	v_add_f64 v[44:45], v[44:45], v[48:49]
	v_add_f64 v[48:49], v[54:55], -v[50:51]
	v_add_f64 v[44:45], v[48:49], v[44:45]
	s_mov_b32 s4, 0x252049c0
	v_add_f64 v[44:45], v[44:45], -v[52:53]
	s_mov_b32 s5, 0xb97b839a
	v_fmac_f64_e32 v[44:45], s[4:5], v[40:41]
	v_add_f64 v[2:3], v[50:51], v[44:45]
	v_add_f64 v[50:51], v[2:3], -v[50:51]
	scratch_store_dwordx2 off, v[2:3], off offset:84 ; 8-byte Folded Spill
	v_add_f64 v[2:3], v[44:45], -v[50:51]
	v_cvt_i32_f64_e32 v1, v[40:41]
	scratch_store_dwordx2 off, v[2:3], off offset:92 ; 8-byte Folded Spill
	scratch_store_dword off, v1, off offset:76 ; 4-byte Folded Spill
.LBB0_12:
	s_or_b64 exec, exec, s[0:1]
                                        ; implicit-def: $vgpr2_vgpr3
                                        ; implicit-def: $vgpr1
                                        ; kill: killed $vgpr1
                                        ; kill: killed $vgpr2_vgpr3
                                        ; implicit-def: $vgpr2_vgpr3
                                        ; kill: killed $vgpr2_vgpr3
	s_and_saveexec_b64 s[0:1], s[2:3]
	s_xor_b64 s[2:3], exec, s[0:1]
	s_cbranch_execz .LBB0_14
; %bb.13:
	s_mov_b32 s0, 0
	s_mov_b32 s1, 0x7b000000
	s_movk_i32 s4, 0xff80
	v_and_b32_e32 v1, 0x7fffffff, v47
	v_ldexp_f64 v[40:41], |v[46:47]|, s4
	v_cmp_ge_f64_e64 vcc, |v[46:47]|, s[0:1]
	s_mov_b32 s0, 0
	s_mov_b32 s1, 0x7ff00000
	v_cndmask_b32_e32 v41, v1, v41, vcc
	v_cndmask_b32_e32 v40, v46, v40, vcc
	v_mul_f64 v[52:53], v[60:61], v[40:41]
	v_mul_f64 v[44:45], v[58:59], v[40:41]
	v_fma_f64 v[54:55], v[60:61], v[40:41], -v[52:53]
	v_add_f64 v[60:61], v[44:45], v[54:55]
	v_add_f64 v[70:71], v[60:61], -v[44:45]
	v_add_f64 v[54:55], v[54:55], -v[70:71]
	v_add_f64 v[70:71], v[60:61], -v[70:71]
	v_add_f64 v[70:71], v[44:45], -v[70:71]
	v_fma_f64 v[44:45], v[58:59], v[40:41], -v[44:45]
	v_mul_f64 v[58:59], v[56:57], v[40:41]
	v_add_f64 v[54:55], v[54:55], v[70:71]
	v_add_f64 v[70:71], v[58:59], v[44:45]
	;; [unrolled: 1-line block ×4, first 2 shown]
	v_ldexp_f64 v[66:67], v[64:65], -2
	v_add_f64 v[52:53], v[64:65], -v[52:53]
	v_add_f64 v[64:65], v[72:73], -v[70:71]
	;; [unrolled: 1-line block ×5, first 2 shown]
	v_add_f64 v[54:55], v[54:55], v[64:65]
	v_add_f64 v[64:65], v[70:71], -v[58:59]
	v_add_f64 v[44:45], v[44:45], -v[64:65]
	;; [unrolled: 1-line block ×5, first 2 shown]
	v_add_f64 v[44:45], v[44:45], v[64:65]
	v_fract_f64_e32 v[68:69], v[66:67]
	v_add_f64 v[60:61], v[52:53], v[72:73]
	v_add_f64 v[44:45], v[44:45], v[54:55]
	v_fma_f64 v[40:41], v[56:57], v[40:41], -v[58:59]
	v_add_f64 v[52:53], v[60:61], -v[52:53]
	v_add_f64 v[40:41], v[40:41], v[44:45]
	v_ldexp_f64 v[44:45], v[68:69], 2
	v_cmp_neq_f64_e64 vcc, |v[66:67]|, s[0:1]
	v_add_f64 v[52:53], v[72:73], -v[52:53]
	v_add_f64 v[40:41], v[52:53], v[40:41]
	v_cndmask_b32_e32 v45, 0, v45, vcc
	v_cndmask_b32_e32 v44, 0, v44, vcc
	v_add_f64 v[52:53], v[60:61], v[44:45]
	v_mov_b32_e32 v1, 0x40100000
	v_cmp_gt_f64_e32 vcc, 0, v[52:53]
	v_mov_b32_e32 v52, 0
	s_mov_b32 s4, 0x33145c07
	v_cndmask_b32_e32 v53, 0, v1, vcc
	v_add_f64 v[44:45], v[44:45], v[52:53]
	v_add_f64 v[54:55], v[60:61], v[44:45]
	v_cvt_i32_f64_e32 v1, v[54:55]
	v_cvt_f64_i32_e32 v[54:55], v1
	v_add_f64 v[44:45], v[44:45], -v[54:55]
	v_add_f64 v[54:55], v[60:61], v[44:45]
	v_cmp_le_f64_e32 vcc, 0.5, v[54:55]
	v_add_f64 v[44:45], v[54:55], -v[44:45]
	v_add_f64 v[44:45], v[60:61], -v[44:45]
	v_addc_co_u32_e64 v1, s[0:1], 0, v1, vcc
	scratch_store_dword off, v1, off offset:108 ; 4-byte Folded Spill
	v_mov_b32_e32 v1, 0x3ff00000
	v_cndmask_b32_e32 v53, 0, v1, vcc
	v_add_f64 v[40:41], v[40:41], v[44:45]
	v_add_f64 v[44:45], v[54:55], -v[52:53]
	v_add_f64 v[52:53], v[44:45], v[40:41]
	s_mov_b32 s0, 0x54442d18
	v_add_f64 v[44:45], v[52:53], -v[44:45]
	s_mov_b32 s1, 0x3ff921fb
	v_add_f64 v[40:41], v[40:41], -v[44:45]
	v_mul_f64 v[44:45], v[52:53], s[0:1]
	v_fma_f64 v[54:55], v[52:53], s[0:1], -v[44:45]
	s_mov_b32 s5, 0x3c91a626
	v_fmac_f64_e32 v[54:55], s[4:5], v[52:53]
	v_fmac_f64_e32 v[54:55], s[0:1], v[40:41]
	v_add_f64 v[2:3], v[44:45], v[54:55]
	v_add_f64 v[40:41], v[2:3], -v[44:45]
	scratch_store_dwordx2 off, v[2:3], off offset:112 ; 8-byte Folded Spill
	v_add_f64 v[2:3], v[54:55], -v[40:41]
	scratch_store_dwordx2 off, v[2:3], off offset:120 ; 8-byte Folded Spill
	s_andn2_saveexec_b64 s[0:1], s[2:3]
	s_cbranch_execnz .LBB0_15
	s_branch .LBB0_16
.LBB0_14:
	s_andn2_saveexec_b64 s[0:1], s[2:3]
	s_cbranch_execz .LBB0_16
.LBB0_15:
	s_mov_b32 s2, 0x6dc9c883
	s_mov_b32 s3, 0x3fe45f30
	v_mul_f64 v[40:41], |v[46:47]|, s[2:3]
	s_mov_b32 s2, 0x54442d18
	v_rndne_f64_e32 v[40:41], v[40:41]
	s_mov_b32 s3, 0xbff921fb
	v_fma_f64 v[44:45], v[40:41], s[2:3], |v[46:47]|
	s_mov_b32 s3, 0xbc91a626
	s_mov_b32 s2, 0x33145c00
	v_mul_f64 v[52:53], v[40:41], s[2:3]
	v_add_f64 v[58:59], v[44:45], v[52:53]
	v_fma_f64 v[54:55], s[2:3], v[40:41], v[44:45]
	s_mov_b32 s3, 0x3c91a626
	v_add_f64 v[44:45], v[44:45], -v[58:59]
	v_fma_f64 v[56:57], s[2:3], v[40:41], v[52:53]
	v_add_f64 v[44:45], v[44:45], v[52:53]
	v_add_f64 v[52:53], v[58:59], -v[54:55]
	v_add_f64 v[44:45], v[52:53], v[44:45]
	s_mov_b32 s2, 0x252049c0
	v_add_f64 v[44:45], v[44:45], -v[56:57]
	s_mov_b32 s3, 0xb97b839a
	v_fmac_f64_e32 v[44:45], s[2:3], v[40:41]
	v_add_f64 v[2:3], v[54:55], v[44:45]
	v_add_f64 v[54:55], v[2:3], -v[54:55]
	scratch_store_dwordx2 off, v[2:3], off offset:112 ; 8-byte Folded Spill
	v_add_f64 v[2:3], v[44:45], -v[54:55]
	v_cvt_i32_f64_e32 v1, v[40:41]
	scratch_store_dwordx2 off, v[2:3], off offset:120 ; 8-byte Folded Spill
	scratch_store_dword off, v1, off offset:108 ; 4-byte Folded Spill
.LBB0_16:
	s_or_b64 exec, exec, s[0:1]
	s_mov_b32 s0, 0x7f3321d2
	s_mov_b32 s1, 0xbfb2d97c
	v_mul_f64 v[56:57], v[62:63], s[0:1]
	s_mov_b32 s0, 0
	s_mov_b32 s1, 0x41d00000
	v_cmp_nlt_f64_e64 s[2:3], |v[56:57]|, s[0:1]
	v_trig_preop_f64 v[72:73], |v[56:57]|, 0
	v_trig_preop_f64 v[70:71], |v[56:57]|, 1
	;; [unrolled: 1-line block ×3, first 2 shown]
                                        ; implicit-def: $vgpr2_vgpr3
                                        ; implicit-def: $vgpr1
                                        ; kill: killed $vgpr1
                                        ; kill: killed $vgpr2_vgpr3
                                        ; implicit-def: $vgpr2_vgpr3
                                        ; kill: killed $vgpr2_vgpr3
	s_and_saveexec_b64 s[0:1], s[2:3]
	s_xor_b64 s[4:5], exec, s[0:1]
	s_cbranch_execz .LBB0_18
; %bb.17:
	s_mov_b32 s0, 0
	s_mov_b32 s1, 0x7b000000
	s_movk_i32 s6, 0xff80
	v_and_b32_e32 v1, 0x7fffffff, v57
	v_ldexp_f64 v[40:41], |v[56:57]|, s6
	v_cmp_ge_f64_e64 vcc, |v[56:57]|, s[0:1]
	s_mov_b32 s0, 0
	s_mov_b32 s1, 0x7ff00000
	v_cndmask_b32_e32 v41, v1, v41, vcc
	v_cndmask_b32_e32 v40, v56, v40, vcc
	v_mul_f64 v[58:59], v[72:73], v[40:41]
	v_mul_f64 v[44:45], v[70:71], v[40:41]
	v_fma_f64 v[60:61], v[72:73], v[40:41], -v[58:59]
	v_add_f64 v[64:65], v[44:45], v[60:61]
	v_add_f64 v[78:79], v[64:65], -v[44:45]
	v_add_f64 v[60:61], v[60:61], -v[78:79]
	;; [unrolled: 1-line block ×4, first 2 shown]
	v_add_f64 v[60:61], v[60:61], v[78:79]
	v_fma_f64 v[44:45], v[70:71], v[40:41], -v[44:45]
	v_mul_f64 v[78:79], v[68:69], v[40:41]
	v_add_f64 v[80:81], v[78:79], v[44:45]
	v_add_f64 v[66:67], v[58:59], v[64:65]
	;; [unrolled: 1-line block ×3, first 2 shown]
	v_ldexp_f64 v[74:75], v[66:67], -2
	v_add_f64 v[58:59], v[66:67], -v[58:59]
	v_add_f64 v[66:67], v[82:83], -v[80:81]
	;; [unrolled: 1-line block ×5, first 2 shown]
	v_add_f64 v[60:61], v[60:61], v[66:67]
	v_add_f64 v[66:67], v[80:81], -v[78:79]
	v_add_f64 v[44:45], v[44:45], -v[66:67]
	;; [unrolled: 1-line block ×5, first 2 shown]
	v_add_f64 v[44:45], v[44:45], v[66:67]
	v_fract_f64_e32 v[76:77], v[74:75]
	v_add_f64 v[64:65], v[58:59], v[82:83]
	v_add_f64 v[44:45], v[44:45], v[60:61]
	v_fma_f64 v[40:41], v[68:69], v[40:41], -v[78:79]
	v_add_f64 v[58:59], v[64:65], -v[58:59]
	v_add_f64 v[40:41], v[40:41], v[44:45]
	v_ldexp_f64 v[44:45], v[76:77], 2
	v_cmp_neq_f64_e64 vcc, |v[74:75]|, s[0:1]
	v_add_f64 v[58:59], v[82:83], -v[58:59]
	v_add_f64 v[40:41], v[58:59], v[40:41]
	v_cndmask_b32_e32 v45, 0, v45, vcc
	v_cndmask_b32_e32 v44, 0, v44, vcc
	v_add_f64 v[58:59], v[64:65], v[44:45]
	v_mov_b32_e32 v1, 0x40100000
	v_cmp_gt_f64_e32 vcc, 0, v[58:59]
	v_mov_b32_e32 v58, 0
	s_mov_b32 s6, 0x33145c07
	v_cndmask_b32_e32 v59, 0, v1, vcc
	v_add_f64 v[44:45], v[44:45], v[58:59]
	v_add_f64 v[60:61], v[64:65], v[44:45]
	v_cvt_i32_f64_e32 v1, v[60:61]
	v_cvt_f64_i32_e32 v[60:61], v1
	v_add_f64 v[44:45], v[44:45], -v[60:61]
	v_add_f64 v[60:61], v[64:65], v[44:45]
	v_cmp_le_f64_e32 vcc, 0.5, v[60:61]
	v_add_f64 v[44:45], v[60:61], -v[44:45]
	v_add_f64 v[44:45], v[64:65], -v[44:45]
	v_addc_co_u32_e64 v1, s[0:1], 0, v1, vcc
	scratch_store_dword off, v1, off offset:128 ; 4-byte Folded Spill
	v_mov_b32_e32 v1, 0x3ff00000
	v_cndmask_b32_e32 v59, 0, v1, vcc
	v_add_f64 v[40:41], v[40:41], v[44:45]
	v_add_f64 v[44:45], v[60:61], -v[58:59]
	v_add_f64 v[58:59], v[44:45], v[40:41]
	s_mov_b32 s0, 0x54442d18
	v_add_f64 v[44:45], v[58:59], -v[44:45]
	s_mov_b32 s1, 0x3ff921fb
	v_add_f64 v[40:41], v[40:41], -v[44:45]
	v_mul_f64 v[44:45], v[58:59], s[0:1]
	v_fma_f64 v[60:61], v[58:59], s[0:1], -v[44:45]
	s_mov_b32 s7, 0x3c91a626
	v_fmac_f64_e32 v[60:61], s[6:7], v[58:59]
	v_fmac_f64_e32 v[60:61], s[0:1], v[40:41]
	v_add_f64 v[2:3], v[44:45], v[60:61]
	v_add_f64 v[40:41], v[2:3], -v[44:45]
	scratch_store_dwordx2 off, v[2:3], off offset:132 ; 8-byte Folded Spill
	v_add_f64 v[2:3], v[60:61], -v[40:41]
	scratch_store_dwordx2 off, v[2:3], off offset:140 ; 8-byte Folded Spill
	s_andn2_saveexec_b64 s[0:1], s[4:5]
	s_cbranch_execz .LBB0_20
	s_branch .LBB0_19
.LBB0_18:
	s_andn2_saveexec_b64 s[0:1], s[4:5]
	s_cbranch_execz .LBB0_20
.LBB0_19:
	s_mov_b32 s4, 0x6dc9c883
	s_mov_b32 s5, 0x3fe45f30
	v_mul_f64 v[40:41], |v[56:57]|, s[4:5]
	s_mov_b32 s4, 0x54442d18
	v_rndne_f64_e32 v[40:41], v[40:41]
	s_mov_b32 s5, 0xbff921fb
	v_fma_f64 v[44:45], v[40:41], s[4:5], |v[56:57]|
	s_mov_b32 s5, 0xbc91a626
	s_mov_b32 s4, 0x33145c00
	v_mul_f64 v[58:59], v[40:41], s[4:5]
	v_add_f64 v[66:67], v[44:45], v[58:59]
	v_fma_f64 v[60:61], s[4:5], v[40:41], v[44:45]
	s_mov_b32 s5, 0x3c91a626
	v_add_f64 v[44:45], v[44:45], -v[66:67]
	v_fma_f64 v[64:65], s[4:5], v[40:41], v[58:59]
	v_add_f64 v[44:45], v[44:45], v[58:59]
	v_add_f64 v[58:59], v[66:67], -v[60:61]
	v_add_f64 v[44:45], v[58:59], v[44:45]
	s_mov_b32 s4, 0x252049c0
	v_add_f64 v[44:45], v[44:45], -v[64:65]
	s_mov_b32 s5, 0xb97b839a
	v_fmac_f64_e32 v[44:45], s[4:5], v[40:41]
	v_add_f64 v[2:3], v[60:61], v[44:45]
	v_add_f64 v[60:61], v[2:3], -v[60:61]
	scratch_store_dwordx2 off, v[2:3], off offset:132 ; 8-byte Folded Spill
	v_add_f64 v[2:3], v[44:45], -v[60:61]
	v_cvt_i32_f64_e32 v1, v[40:41]
	scratch_store_dwordx2 off, v[2:3], off offset:140 ; 8-byte Folded Spill
	scratch_store_dword off, v1, off offset:128 ; 4-byte Folded Spill
.LBB0_20:
	s_or_b64 exec, exec, s[0:1]
                                        ; implicit-def: $vgpr1
                                        ; kill: killed $vgpr1
                                        ; implicit-def: $vgpr48_vgpr49
                                        ; implicit-def: $vgpr2_vgpr3
                                        ; kill: killed $vgpr2_vgpr3
	s_and_saveexec_b64 s[0:1], s[2:3]
	s_xor_b64 s[2:3], exec, s[0:1]
	s_cbranch_execz .LBB0_22
; %bb.21:
	s_mov_b32 s0, 0
	s_mov_b32 s1, 0x7b000000
	s_movk_i32 s4, 0xff80
	v_and_b32_e32 v1, 0x7fffffff, v57
	v_ldexp_f64 v[40:41], |v[56:57]|, s4
	v_cmp_ge_f64_e64 vcc, |v[56:57]|, s[0:1]
	s_mov_b32 s0, 0
	s_mov_b32 s1, 0x7ff00000
	v_cndmask_b32_e32 v41, v1, v41, vcc
	v_cndmask_b32_e32 v40, v56, v40, vcc
	v_mul_f64 v[64:65], v[72:73], v[40:41]
	v_mul_f64 v[44:45], v[70:71], v[40:41]
	v_fma_f64 v[66:67], v[72:73], v[40:41], -v[64:65]
	v_add_f64 v[72:73], v[44:45], v[66:67]
	v_add_f64 v[80:81], v[72:73], -v[44:45]
	v_add_f64 v[66:67], v[66:67], -v[80:81]
	;; [unrolled: 1-line block ×4, first 2 shown]
	v_fma_f64 v[44:45], v[70:71], v[40:41], -v[44:45]
	v_mul_f64 v[70:71], v[68:69], v[40:41]
	v_add_f64 v[66:67], v[66:67], v[80:81]
	v_add_f64 v[80:81], v[70:71], v[44:45]
	;; [unrolled: 1-line block ×4, first 2 shown]
	v_ldexp_f64 v[76:77], v[74:75], -2
	v_add_f64 v[64:65], v[74:75], -v[64:65]
	v_add_f64 v[74:75], v[82:83], -v[80:81]
	;; [unrolled: 1-line block ×5, first 2 shown]
	v_add_f64 v[66:67], v[66:67], v[74:75]
	v_add_f64 v[74:75], v[80:81], -v[70:71]
	v_add_f64 v[44:45], v[44:45], -v[74:75]
	;; [unrolled: 1-line block ×5, first 2 shown]
	v_add_f64 v[44:45], v[44:45], v[74:75]
	v_fract_f64_e32 v[78:79], v[76:77]
	v_add_f64 v[72:73], v[64:65], v[82:83]
	v_add_f64 v[44:45], v[44:45], v[66:67]
	v_fma_f64 v[40:41], v[68:69], v[40:41], -v[70:71]
	v_add_f64 v[64:65], v[72:73], -v[64:65]
	v_add_f64 v[40:41], v[40:41], v[44:45]
	v_ldexp_f64 v[44:45], v[78:79], 2
	v_cmp_neq_f64_e64 vcc, |v[76:77]|, s[0:1]
	v_add_f64 v[64:65], v[82:83], -v[64:65]
	v_add_f64 v[40:41], v[64:65], v[40:41]
	v_cndmask_b32_e32 v45, 0, v45, vcc
	v_cndmask_b32_e32 v44, 0, v44, vcc
	v_add_f64 v[64:65], v[72:73], v[44:45]
	v_mov_b32_e32 v1, 0x40100000
	v_cmp_gt_f64_e32 vcc, 0, v[64:65]
	v_mov_b32_e32 v64, 0
	v_mov_b32_e32 v2, 0x3ff00000
	v_cndmask_b32_e32 v65, 0, v1, vcc
	v_add_f64 v[44:45], v[44:45], v[64:65]
	v_add_f64 v[66:67], v[72:73], v[44:45]
	v_cvt_i32_f64_e32 v1, v[66:67]
	v_cvt_f64_i32_e32 v[66:67], v1
	v_add_f64 v[44:45], v[44:45], -v[66:67]
	v_add_f64 v[66:67], v[72:73], v[44:45]
	v_add_f64 v[44:45], v[66:67], -v[44:45]
	v_cmp_le_f64_e32 vcc, 0.5, v[66:67]
	v_add_f64 v[44:45], v[72:73], -v[44:45]
	v_add_f64 v[40:41], v[40:41], v[44:45]
	v_cndmask_b32_e32 v65, 0, v2, vcc
	v_addc_co_u32_e64 v1, s[0:1], 0, v1, vcc
	v_add_f64 v[44:45], v[66:67], -v[64:65]
	v_add_f64 v[64:65], v[44:45], v[40:41]
	s_mov_b32 s0, 0x54442d18
	v_add_f64 v[44:45], v[64:65], -v[44:45]
	s_mov_b32 s1, 0x3ff921fb
	v_add_f64 v[40:41], v[40:41], -v[44:45]
	v_mul_f64 v[44:45], v[64:65], s[0:1]
	s_mov_b32 s4, 0x33145c07
	v_fma_f64 v[66:67], v[64:65], s[0:1], -v[44:45]
	s_mov_b32 s5, 0x3c91a626
	v_fmac_f64_e32 v[66:67], s[4:5], v[64:65]
	v_fmac_f64_e32 v[66:67], s[0:1], v[40:41]
	v_add_f64 v[48:49], v[44:45], v[66:67]
	v_add_f64 v[40:41], v[48:49], -v[44:45]
	v_add_f64 v[2:3], v[66:67], -v[40:41]
	scratch_store_dword off, v1, off offset:148 ; 4-byte Folded Spill
	scratch_store_dwordx2 off, v[2:3], off offset:156 ; 8-byte Folded Spill
	s_andn2_saveexec_b64 s[0:1], s[2:3]
	s_cbranch_execnz .LBB0_23
	s_branch .LBB0_24
.LBB0_22:
	s_andn2_saveexec_b64 s[0:1], s[2:3]
	s_cbranch_execz .LBB0_24
.LBB0_23:
	s_mov_b32 s2, 0x6dc9c883
	s_mov_b32 s3, 0x3fe45f30
	v_mul_f64 v[40:41], |v[56:57]|, s[2:3]
	s_mov_b32 s2, 0x54442d18
	v_rndne_f64_e32 v[40:41], v[40:41]
	s_mov_b32 s3, 0xbff921fb
	v_fma_f64 v[44:45], v[40:41], s[2:3], |v[56:57]|
	s_mov_b32 s3, 0xbc91a626
	s_mov_b32 s2, 0x33145c00
	v_mul_f64 v[64:65], v[40:41], s[2:3]
	v_add_f64 v[70:71], v[44:45], v[64:65]
	v_fma_f64 v[66:67], s[2:3], v[40:41], v[44:45]
	s_mov_b32 s3, 0x3c91a626
	v_add_f64 v[44:45], v[44:45], -v[70:71]
	v_fma_f64 v[68:69], s[2:3], v[40:41], v[64:65]
	v_add_f64 v[44:45], v[44:45], v[64:65]
	v_add_f64 v[64:65], v[70:71], -v[66:67]
	v_add_f64 v[44:45], v[64:65], v[44:45]
	s_mov_b32 s2, 0x252049c0
	v_add_f64 v[44:45], v[44:45], -v[68:69]
	s_mov_b32 s3, 0xb97b839a
	v_fmac_f64_e32 v[44:45], s[2:3], v[40:41]
	v_add_f64 v[48:49], v[66:67], v[44:45]
	v_add_f64 v[66:67], v[48:49], -v[66:67]
	v_add_f64 v[2:3], v[44:45], -v[66:67]
	v_cvt_i32_f64_e32 v1, v[40:41]
	scratch_store_dwordx2 off, v[2:3], off offset:156 ; 8-byte Folded Spill
	scratch_store_dword off, v1, off offset:148 ; 4-byte Folded Spill
.LBB0_24:
	s_or_b64 exec, exec, s[0:1]
	s_mov_b32 s5, 0xbf8921fb
	s_mov_b32 s4, 0x54442d18
	;; [unrolled: 1-line block ×3, first 2 shown]
	v_mul_f64 v[68:69], v[62:63], s[4:5]
	s_mov_b32 s1, 0x41d00000
	v_cmp_nlt_f64_e64 s[2:3], |v[68:69]|, s[0:1]
	v_trig_preop_f64 v[82:83], |v[68:69]|, 0
	v_trig_preop_f64 v[80:81], |v[68:69]|, 1
	;; [unrolled: 1-line block ×3, first 2 shown]
                                        ; implicit-def: $vgpr1
                                        ; implicit-def: $vgpr70_vgpr71
                                        ; implicit-def: $vgpr22_vgpr23
	s_and_saveexec_b64 s[0:1], s[2:3]
	s_xor_b64 s[6:7], exec, s[0:1]
	s_cbranch_execz .LBB0_26
; %bb.25:
	s_mov_b32 s0, 0
	s_mov_b32 s1, 0x7b000000
	s_movk_i32 s5, 0xff80
	v_and_b32_e32 v2, 0x7fffffff, v69
	v_ldexp_f64 v[40:41], |v[68:69]|, s5
	v_cmp_ge_f64_e64 vcc, |v[68:69]|, s[0:1]
	s_mov_b32 s0, 0
	s_mov_b32 s1, 0x7ff00000
	v_cndmask_b32_e32 v41, v2, v41, vcc
	v_cndmask_b32_e32 v40, v68, v40, vcc
	v_mul_f64 v[70:71], v[82:83], v[40:41]
	v_mul_f64 v[44:45], v[80:81], v[40:41]
	v_fma_f64 v[72:73], v[82:83], v[40:41], -v[70:71]
	v_add_f64 v[74:75], v[44:45], v[72:73]
	v_add_f64 v[88:89], v[74:75], -v[44:45]
	v_add_f64 v[72:73], v[72:73], -v[88:89]
	;; [unrolled: 1-line block ×4, first 2 shown]
	v_add_f64 v[72:73], v[72:73], v[88:89]
	v_fma_f64 v[44:45], v[80:81], v[40:41], -v[44:45]
	v_mul_f64 v[88:89], v[78:79], v[40:41]
	v_add_f64 v[90:91], v[88:89], v[44:45]
	v_add_f64 v[76:77], v[70:71], v[74:75]
	;; [unrolled: 1-line block ×3, first 2 shown]
	v_ldexp_f64 v[84:85], v[76:77], -2
	v_add_f64 v[70:71], v[76:77], -v[70:71]
	v_add_f64 v[76:77], v[92:93], -v[90:91]
	;; [unrolled: 1-line block ×5, first 2 shown]
	v_add_f64 v[72:73], v[72:73], v[76:77]
	v_add_f64 v[76:77], v[90:91], -v[88:89]
	v_add_f64 v[44:45], v[44:45], -v[76:77]
	;; [unrolled: 1-line block ×5, first 2 shown]
	v_add_f64 v[44:45], v[44:45], v[76:77]
	v_fract_f64_e32 v[86:87], v[84:85]
	v_add_f64 v[74:75], v[70:71], v[92:93]
	v_add_f64 v[44:45], v[44:45], v[72:73]
	v_fma_f64 v[40:41], v[78:79], v[40:41], -v[88:89]
	v_add_f64 v[70:71], v[74:75], -v[70:71]
	v_add_f64 v[40:41], v[40:41], v[44:45]
	v_ldexp_f64 v[44:45], v[86:87], 2
	v_cmp_neq_f64_e64 vcc, |v[84:85]|, s[0:1]
	v_add_f64 v[70:71], v[92:93], -v[70:71]
	v_add_f64 v[40:41], v[70:71], v[40:41]
	v_cndmask_b32_e32 v45, 0, v45, vcc
	v_cndmask_b32_e32 v44, 0, v44, vcc
	v_add_f64 v[70:71], v[74:75], v[44:45]
	v_mov_b32_e32 v2, 0x40100000
	v_cmp_gt_f64_e32 vcc, 0, v[70:71]
	v_mov_b32_e32 v70, 0
	s_mov_b32 s5, 0x3ff921fb
	v_cndmask_b32_e32 v71, 0, v2, vcc
	v_add_f64 v[44:45], v[44:45], v[70:71]
	v_add_f64 v[72:73], v[74:75], v[44:45]
	v_cvt_i32_f64_e32 v2, v[72:73]
	v_cvt_f64_i32_e32 v[72:73], v2
	v_add_f64 v[44:45], v[44:45], -v[72:73]
	v_add_f64 v[72:73], v[74:75], v[44:45]
	v_cmp_le_f64_e32 vcc, 0.5, v[72:73]
	v_add_f64 v[44:45], v[72:73], -v[44:45]
	v_add_f64 v[44:45], v[74:75], -v[44:45]
	v_addc_co_u32_e64 v1, s[0:1], 0, v2, vcc
	v_mov_b32_e32 v2, 0x3ff00000
	v_cndmask_b32_e32 v71, 0, v2, vcc
	v_add_f64 v[40:41], v[40:41], v[44:45]
	v_add_f64 v[44:45], v[72:73], -v[70:71]
	v_add_f64 v[70:71], v[44:45], v[40:41]
	v_add_f64 v[44:45], v[70:71], -v[44:45]
	v_add_f64 v[40:41], v[40:41], -v[44:45]
	v_mul_f64 v[44:45], v[70:71], s[4:5]
	s_mov_b32 s0, 0x33145c07
	v_fma_f64 v[72:73], v[70:71], s[4:5], -v[44:45]
	s_mov_b32 s1, 0x3c91a626
	v_fmac_f64_e32 v[72:73], s[0:1], v[70:71]
	v_fmac_f64_e32 v[72:73], s[4:5], v[40:41]
	v_add_f64 v[70:71], v[44:45], v[72:73]
	v_add_f64 v[40:41], v[70:71], -v[44:45]
	v_add_f64 v[22:23], v[72:73], -v[40:41]
	s_andn2_saveexec_b64 s[0:1], s[6:7]
	s_cbranch_execz .LBB0_28
	s_branch .LBB0_27
.LBB0_26:
	s_andn2_saveexec_b64 s[0:1], s[6:7]
	s_cbranch_execz .LBB0_28
.LBB0_27:
	s_mov_b32 s4, 0x6dc9c883
	s_mov_b32 s5, 0x3fe45f30
	v_mul_f64 v[40:41], |v[68:69]|, s[4:5]
	s_mov_b32 s4, 0x54442d18
	v_rndne_f64_e32 v[40:41], v[40:41]
	s_mov_b32 s5, 0xbff921fb
	v_fma_f64 v[44:45], v[40:41], s[4:5], |v[68:69]|
	s_mov_b32 s5, 0xbc91a626
	s_mov_b32 s4, 0x33145c00
	v_mul_f64 v[70:71], v[40:41], s[4:5]
	v_add_f64 v[76:77], v[44:45], v[70:71]
	v_fma_f64 v[72:73], s[4:5], v[40:41], v[44:45]
	s_mov_b32 s5, 0x3c91a626
	v_add_f64 v[44:45], v[44:45], -v[76:77]
	v_fma_f64 v[74:75], s[4:5], v[40:41], v[70:71]
	v_add_f64 v[44:45], v[44:45], v[70:71]
	v_add_f64 v[70:71], v[76:77], -v[72:73]
	v_add_f64 v[44:45], v[70:71], v[44:45]
	s_mov_b32 s4, 0x252049c0
	v_add_f64 v[44:45], v[44:45], -v[74:75]
	s_mov_b32 s5, 0xb97b839a
	v_fmac_f64_e32 v[44:45], s[4:5], v[40:41]
	v_add_f64 v[70:71], v[72:73], v[44:45]
	v_add_f64 v[72:73], v[70:71], -v[72:73]
	v_add_f64 v[22:23], v[44:45], -v[72:73]
	v_cvt_i32_f64_e32 v1, v[40:41]
.LBB0_28:
	s_or_b64 exec, exec, s[0:1]
                                        ; implicit-def: $vgpr2
                                        ; kill: killed $vgpr2
                                        ; implicit-def: $vgpr42_vgpr43
                                        ; implicit-def: $vgpr76_vgpr77
	s_and_saveexec_b64 s[0:1], s[2:3]
	s_xor_b64 s[2:3], exec, s[0:1]
	s_cbranch_execz .LBB0_30
; %bb.29:
	s_mov_b32 s0, 0
	s_mov_b32 s1, 0x7b000000
	s_movk_i32 s4, 0xff80
	v_and_b32_e32 v2, 0x7fffffff, v69
	v_ldexp_f64 v[40:41], |v[68:69]|, s4
	v_cmp_ge_f64_e64 vcc, |v[68:69]|, s[0:1]
	s_mov_b32 s0, 0
	s_mov_b32 s1, 0x7ff00000
	v_cndmask_b32_e32 v41, v2, v41, vcc
	v_cndmask_b32_e32 v40, v68, v40, vcc
	v_mul_f64 v[74:75], v[82:83], v[40:41]
	v_mul_f64 v[44:45], v[80:81], v[40:41]
	v_fma_f64 v[76:77], v[82:83], v[40:41], -v[74:75]
	v_add_f64 v[82:83], v[44:45], v[76:77]
	v_add_f64 v[90:91], v[82:83], -v[44:45]
	v_add_f64 v[76:77], v[76:77], -v[90:91]
	;; [unrolled: 1-line block ×4, first 2 shown]
	v_fma_f64 v[44:45], v[80:81], v[40:41], -v[44:45]
	v_mul_f64 v[80:81], v[78:79], v[40:41]
	v_add_f64 v[76:77], v[76:77], v[90:91]
	v_add_f64 v[90:91], v[80:81], v[44:45]
	;; [unrolled: 1-line block ×4, first 2 shown]
	v_ldexp_f64 v[86:87], v[84:85], -2
	v_add_f64 v[74:75], v[84:85], -v[74:75]
	v_add_f64 v[84:85], v[92:93], -v[90:91]
	;; [unrolled: 1-line block ×5, first 2 shown]
	v_add_f64 v[76:77], v[76:77], v[84:85]
	v_add_f64 v[84:85], v[90:91], -v[80:81]
	v_add_f64 v[44:45], v[44:45], -v[84:85]
	;; [unrolled: 1-line block ×5, first 2 shown]
	v_add_f64 v[44:45], v[44:45], v[84:85]
	v_fract_f64_e32 v[88:89], v[86:87]
	v_add_f64 v[82:83], v[74:75], v[92:93]
	v_add_f64 v[44:45], v[44:45], v[76:77]
	v_fma_f64 v[40:41], v[78:79], v[40:41], -v[80:81]
	v_add_f64 v[74:75], v[82:83], -v[74:75]
	v_add_f64 v[40:41], v[40:41], v[44:45]
	v_ldexp_f64 v[44:45], v[88:89], 2
	v_cmp_neq_f64_e64 vcc, |v[86:87]|, s[0:1]
	v_add_f64 v[74:75], v[92:93], -v[74:75]
	v_add_f64 v[40:41], v[74:75], v[40:41]
	v_cndmask_b32_e32 v45, 0, v45, vcc
	v_cndmask_b32_e32 v44, 0, v44, vcc
	v_add_f64 v[74:75], v[82:83], v[44:45]
	v_mov_b32_e32 v2, 0x40100000
	v_cmp_gt_f64_e32 vcc, 0, v[74:75]
	v_mov_b32_e32 v74, 0
	s_mov_b32 s4, 0x33145c07
	v_cndmask_b32_e32 v75, 0, v2, vcc
	v_add_f64 v[44:45], v[44:45], v[74:75]
	v_add_f64 v[76:77], v[82:83], v[44:45]
	v_cvt_i32_f64_e32 v2, v[76:77]
	v_cvt_f64_i32_e32 v[76:77], v2
	v_add_f64 v[44:45], v[44:45], -v[76:77]
	v_add_f64 v[76:77], v[82:83], v[44:45]
	v_cmp_le_f64_e32 vcc, 0.5, v[76:77]
	v_add_f64 v[44:45], v[76:77], -v[44:45]
	v_add_f64 v[44:45], v[82:83], -v[44:45]
	v_addc_co_u32_e64 v2, s[0:1], 0, v2, vcc
	scratch_store_dword off, v2, off offset:164 ; 4-byte Folded Spill
	v_mov_b32_e32 v2, 0x3ff00000
	v_cndmask_b32_e32 v75, 0, v2, vcc
	v_add_f64 v[40:41], v[40:41], v[44:45]
	v_add_f64 v[44:45], v[76:77], -v[74:75]
	v_add_f64 v[74:75], v[44:45], v[40:41]
	s_mov_b32 s0, 0x54442d18
	v_add_f64 v[44:45], v[74:75], -v[44:45]
	s_mov_b32 s1, 0x3ff921fb
	v_add_f64 v[40:41], v[40:41], -v[44:45]
	v_mul_f64 v[44:45], v[74:75], s[0:1]
	v_fma_f64 v[76:77], v[74:75], s[0:1], -v[44:45]
	s_mov_b32 s5, 0x3c91a626
	v_fmac_f64_e32 v[76:77], s[4:5], v[74:75]
	v_fmac_f64_e32 v[76:77], s[0:1], v[40:41]
	v_add_f64 v[42:43], v[44:45], v[76:77]
	v_add_f64 v[40:41], v[42:43], -v[44:45]
	v_add_f64 v[76:77], v[76:77], -v[40:41]
	s_andn2_saveexec_b64 s[0:1], s[2:3]
	s_cbranch_execnz .LBB0_31
	s_branch .LBB0_32
.LBB0_30:
	s_andn2_saveexec_b64 s[0:1], s[2:3]
	s_cbranch_execz .LBB0_32
.LBB0_31:
	s_mov_b32 s2, 0x6dc9c883
	s_mov_b32 s3, 0x3fe45f30
	v_mul_f64 v[40:41], |v[68:69]|, s[2:3]
	s_mov_b32 s2, 0x54442d18
	v_rndne_f64_e32 v[40:41], v[40:41]
	s_mov_b32 s3, 0xbff921fb
	v_fma_f64 v[44:45], v[40:41], s[2:3], |v[68:69]|
	s_mov_b32 s3, 0xbc91a626
	s_mov_b32 s2, 0x33145c00
	v_mul_f64 v[74:75], v[40:41], s[2:3]
	v_add_f64 v[80:81], v[44:45], v[74:75]
	v_fma_f64 v[76:77], s[2:3], v[40:41], v[44:45]
	s_mov_b32 s3, 0x3c91a626
	v_add_f64 v[44:45], v[44:45], -v[80:81]
	v_fma_f64 v[78:79], s[2:3], v[40:41], v[74:75]
	v_add_f64 v[44:45], v[44:45], v[74:75]
	v_add_f64 v[74:75], v[80:81], -v[76:77]
	v_add_f64 v[44:45], v[74:75], v[44:45]
	s_mov_b32 s2, 0x252049c0
	v_add_f64 v[44:45], v[44:45], -v[78:79]
	s_mov_b32 s3, 0xb97b839a
	v_fmac_f64_e32 v[44:45], s[2:3], v[40:41]
	v_add_f64 v[42:43], v[76:77], v[44:45]
	v_add_f64 v[76:77], v[42:43], -v[76:77]
	v_add_f64 v[76:77], v[44:45], -v[76:77]
	v_cvt_i32_f64_e32 v2, v[40:41]
	scratch_store_dword off, v2, off offset:164 ; 4-byte Folded Spill
.LBB0_32:
	s_or_b64 exec, exec, s[0:1]
	s_mov_b32 s0, 0x2955385e
	s_mov_b32 s1, 0xbfaf6a7a
	v_mul_f64 v[78:79], v[62:63], s[0:1]
	s_mov_b32 s0, 0
	s_mov_b32 s1, 0x41d00000
	v_cmp_nlt_f64_e64 s[2:3], |v[78:79]|, s[0:1]
	v_trig_preop_f64 v[92:93], |v[78:79]|, 0
	v_trig_preop_f64 v[90:91], |v[78:79]|, 1
	;; [unrolled: 1-line block ×3, first 2 shown]
                                        ; implicit-def: $vgpr21
                                        ; implicit-def: $vgpr80_vgpr81
                                        ; implicit-def: $vgpr82_vgpr83
	s_and_saveexec_b64 s[0:1], s[2:3]
	s_xor_b64 s[4:5], exec, s[0:1]
	s_cbranch_execz .LBB0_34
; %bb.33:
	s_mov_b32 s0, 0
	s_mov_b32 s1, 0x7b000000
	s_movk_i32 s6, 0xff80
	v_and_b32_e32 v2, 0x7fffffff, v79
	v_ldexp_f64 v[40:41], |v[78:79]|, s6
	v_cmp_ge_f64_e64 vcc, |v[78:79]|, s[0:1]
	s_mov_b32 s0, 0
	s_mov_b32 s1, 0x7ff00000
	v_cndmask_b32_e32 v41, v2, v41, vcc
	v_cndmask_b32_e32 v40, v78, v40, vcc
	v_mul_f64 v[80:81], v[92:93], v[40:41]
	v_mul_f64 v[44:45], v[90:91], v[40:41]
	v_fma_f64 v[82:83], v[92:93], v[40:41], -v[80:81]
	v_add_f64 v[84:85], v[44:45], v[82:83]
	v_add_f64 v[98:99], v[84:85], -v[44:45]
	v_add_f64 v[82:83], v[82:83], -v[98:99]
	;; [unrolled: 1-line block ×4, first 2 shown]
	v_add_f64 v[82:83], v[82:83], v[98:99]
	v_fma_f64 v[44:45], v[90:91], v[40:41], -v[44:45]
	v_mul_f64 v[98:99], v[88:89], v[40:41]
	v_add_f64 v[100:101], v[98:99], v[44:45]
	v_add_f64 v[86:87], v[80:81], v[84:85]
	;; [unrolled: 1-line block ×3, first 2 shown]
	v_ldexp_f64 v[94:95], v[86:87], -2
	v_add_f64 v[80:81], v[86:87], -v[80:81]
	v_add_f64 v[86:87], v[102:103], -v[100:101]
	;; [unrolled: 1-line block ×5, first 2 shown]
	v_add_f64 v[82:83], v[82:83], v[86:87]
	v_add_f64 v[86:87], v[100:101], -v[98:99]
	v_add_f64 v[44:45], v[44:45], -v[86:87]
	;; [unrolled: 1-line block ×5, first 2 shown]
	v_add_f64 v[44:45], v[44:45], v[86:87]
	v_fract_f64_e32 v[96:97], v[94:95]
	v_add_f64 v[84:85], v[80:81], v[102:103]
	v_add_f64 v[44:45], v[44:45], v[82:83]
	v_fma_f64 v[40:41], v[88:89], v[40:41], -v[98:99]
	v_add_f64 v[80:81], v[84:85], -v[80:81]
	v_add_f64 v[40:41], v[40:41], v[44:45]
	v_ldexp_f64 v[44:45], v[96:97], 2
	v_cmp_neq_f64_e64 vcc, |v[94:95]|, s[0:1]
	v_add_f64 v[80:81], v[102:103], -v[80:81]
	v_add_f64 v[40:41], v[80:81], v[40:41]
	v_cndmask_b32_e32 v45, 0, v45, vcc
	v_cndmask_b32_e32 v44, 0, v44, vcc
	v_add_f64 v[80:81], v[84:85], v[44:45]
	v_mov_b32_e32 v2, 0x40100000
	v_cmp_gt_f64_e32 vcc, 0, v[80:81]
	v_mov_b32_e32 v80, 0
	s_mov_b32 s6, 0x33145c07
	v_cndmask_b32_e32 v81, 0, v2, vcc
	v_add_f64 v[44:45], v[44:45], v[80:81]
	v_add_f64 v[82:83], v[84:85], v[44:45]
	v_cvt_i32_f64_e32 v2, v[82:83]
	v_cvt_f64_i32_e32 v[82:83], v2
	v_add_f64 v[44:45], v[44:45], -v[82:83]
	v_add_f64 v[82:83], v[84:85], v[44:45]
	v_cmp_le_f64_e32 vcc, 0.5, v[82:83]
	v_add_f64 v[44:45], v[82:83], -v[44:45]
	v_add_f64 v[44:45], v[84:85], -v[44:45]
	v_addc_co_u32_e64 v21, s[0:1], 0, v2, vcc
	v_mov_b32_e32 v2, 0x3ff00000
	v_cndmask_b32_e32 v81, 0, v2, vcc
	v_add_f64 v[40:41], v[40:41], v[44:45]
	v_add_f64 v[44:45], v[82:83], -v[80:81]
	v_add_f64 v[80:81], v[44:45], v[40:41]
	s_mov_b32 s0, 0x54442d18
	v_add_f64 v[44:45], v[80:81], -v[44:45]
	s_mov_b32 s1, 0x3ff921fb
	v_add_f64 v[40:41], v[40:41], -v[44:45]
	v_mul_f64 v[44:45], v[80:81], s[0:1]
	v_fma_f64 v[82:83], v[80:81], s[0:1], -v[44:45]
	s_mov_b32 s7, 0x3c91a626
	v_fmac_f64_e32 v[82:83], s[6:7], v[80:81]
	v_fmac_f64_e32 v[82:83], s[0:1], v[40:41]
	v_add_f64 v[80:81], v[44:45], v[82:83]
	v_add_f64 v[40:41], v[80:81], -v[44:45]
	v_add_f64 v[82:83], v[82:83], -v[40:41]
	s_andn2_saveexec_b64 s[0:1], s[4:5]
	s_cbranch_execz .LBB0_36
	s_branch .LBB0_35
.LBB0_34:
	s_andn2_saveexec_b64 s[0:1], s[4:5]
	s_cbranch_execz .LBB0_36
.LBB0_35:
	s_mov_b32 s4, 0x6dc9c883
	s_mov_b32 s5, 0x3fe45f30
	v_mul_f64 v[40:41], |v[78:79]|, s[4:5]
	s_mov_b32 s4, 0x54442d18
	v_rndne_f64_e32 v[40:41], v[40:41]
	s_mov_b32 s5, 0xbff921fb
	v_fma_f64 v[44:45], v[40:41], s[4:5], |v[78:79]|
	s_mov_b32 s5, 0xbc91a626
	s_mov_b32 s4, 0x33145c00
	v_mul_f64 v[80:81], v[40:41], s[4:5]
	v_add_f64 v[86:87], v[44:45], v[80:81]
	v_fma_f64 v[82:83], s[4:5], v[40:41], v[44:45]
	s_mov_b32 s5, 0x3c91a626
	v_add_f64 v[44:45], v[44:45], -v[86:87]
	v_fma_f64 v[84:85], s[4:5], v[40:41], v[80:81]
	v_add_f64 v[44:45], v[44:45], v[80:81]
	v_add_f64 v[80:81], v[86:87], -v[82:83]
	v_add_f64 v[44:45], v[80:81], v[44:45]
	s_mov_b32 s4, 0x252049c0
	v_add_f64 v[44:45], v[44:45], -v[84:85]
	s_mov_b32 s5, 0xb97b839a
	v_fmac_f64_e32 v[44:45], s[4:5], v[40:41]
	v_add_f64 v[80:81], v[82:83], v[44:45]
	v_add_f64 v[82:83], v[80:81], -v[82:83]
	v_add_f64 v[82:83], v[44:45], -v[82:83]
	v_cvt_i32_f64_e32 v21, v[40:41]
.LBB0_36:
	s_or_b64 exec, exec, s[0:1]
                                        ; implicit-def: $vgpr20
                                        ; implicit-def: $vgpr84_vgpr85
                                        ; implicit-def: $vgpr86_vgpr87
	s_and_saveexec_b64 s[0:1], s[2:3]
	s_xor_b64 s[2:3], exec, s[0:1]
	s_cbranch_execz .LBB0_38
; %bb.37:
	s_mov_b32 s0, 0
	s_mov_b32 s1, 0x7b000000
	s_movk_i32 s4, 0xff80
	v_and_b32_e32 v2, 0x7fffffff, v79
	v_ldexp_f64 v[40:41], |v[78:79]|, s4
	v_cmp_ge_f64_e64 vcc, |v[78:79]|, s[0:1]
	s_mov_b32 s0, 0
	s_mov_b32 s1, 0x7ff00000
	v_cndmask_b32_e32 v41, v2, v41, vcc
	v_cndmask_b32_e32 v40, v78, v40, vcc
	v_mul_f64 v[84:85], v[92:93], v[40:41]
	v_mul_f64 v[44:45], v[90:91], v[40:41]
	v_fma_f64 v[86:87], v[92:93], v[40:41], -v[84:85]
	v_add_f64 v[92:93], v[44:45], v[86:87]
	v_add_f64 v[100:101], v[92:93], -v[44:45]
	v_add_f64 v[86:87], v[86:87], -v[100:101]
	;; [unrolled: 1-line block ×4, first 2 shown]
	v_fma_f64 v[44:45], v[90:91], v[40:41], -v[44:45]
	v_mul_f64 v[90:91], v[88:89], v[40:41]
	v_add_f64 v[86:87], v[86:87], v[100:101]
	v_add_f64 v[100:101], v[90:91], v[44:45]
	;; [unrolled: 1-line block ×4, first 2 shown]
	v_ldexp_f64 v[96:97], v[94:95], -2
	v_add_f64 v[84:85], v[94:95], -v[84:85]
	v_add_f64 v[94:95], v[102:103], -v[100:101]
	;; [unrolled: 1-line block ×5, first 2 shown]
	v_add_f64 v[86:87], v[86:87], v[94:95]
	v_add_f64 v[94:95], v[100:101], -v[90:91]
	v_add_f64 v[44:45], v[44:45], -v[94:95]
	;; [unrolled: 1-line block ×5, first 2 shown]
	v_add_f64 v[44:45], v[44:45], v[94:95]
	v_fract_f64_e32 v[98:99], v[96:97]
	v_add_f64 v[92:93], v[84:85], v[102:103]
	v_add_f64 v[44:45], v[44:45], v[86:87]
	v_fma_f64 v[40:41], v[88:89], v[40:41], -v[90:91]
	v_add_f64 v[84:85], v[92:93], -v[84:85]
	v_add_f64 v[40:41], v[40:41], v[44:45]
	v_ldexp_f64 v[44:45], v[98:99], 2
	v_cmp_neq_f64_e64 vcc, |v[96:97]|, s[0:1]
	v_add_f64 v[84:85], v[102:103], -v[84:85]
	v_add_f64 v[40:41], v[84:85], v[40:41]
	v_cndmask_b32_e32 v45, 0, v45, vcc
	v_cndmask_b32_e32 v44, 0, v44, vcc
	v_add_f64 v[84:85], v[92:93], v[44:45]
	v_mov_b32_e32 v2, 0x40100000
	v_cmp_gt_f64_e32 vcc, 0, v[84:85]
	v_mov_b32_e32 v84, 0
	s_mov_b32 s4, 0x33145c07
	v_cndmask_b32_e32 v85, 0, v2, vcc
	v_add_f64 v[44:45], v[44:45], v[84:85]
	v_add_f64 v[86:87], v[92:93], v[44:45]
	v_cvt_i32_f64_e32 v2, v[86:87]
	v_cvt_f64_i32_e32 v[86:87], v2
	v_add_f64 v[44:45], v[44:45], -v[86:87]
	v_add_f64 v[86:87], v[92:93], v[44:45]
	v_cmp_le_f64_e32 vcc, 0.5, v[86:87]
	v_add_f64 v[44:45], v[86:87], -v[44:45]
	v_add_f64 v[44:45], v[92:93], -v[44:45]
	v_addc_co_u32_e64 v20, s[0:1], 0, v2, vcc
	v_mov_b32_e32 v2, 0x3ff00000
	v_cndmask_b32_e32 v85, 0, v2, vcc
	v_add_f64 v[44:45], v[40:41], v[44:45]
	v_add_f64 v[84:85], v[86:87], -v[84:85]
	s_mov_b32 s0, 0x54442d18
	v_add_f64 v[86:87], v[84:85], v[44:45]
	s_mov_b32 s1, 0x3ff921fb
	v_mul_f64 v[88:89], v[86:87], s[0:1]
	v_add_f64 v[84:85], v[86:87], -v[84:85]
	v_fma_f64 v[90:91], v[86:87], s[0:1], -v[88:89]
	s_mov_b32 s5, 0x3c91a626
	v_add_f64 v[44:45], v[44:45], -v[84:85]
	v_fmac_f64_e32 v[90:91], s[4:5], v[86:87]
	v_fmac_f64_e32 v[90:91], s[0:1], v[44:45]
	v_add_f64 v[84:85], v[88:89], v[90:91]
	v_add_f64 v[44:45], v[84:85], -v[88:89]
	v_add_f64 v[86:87], v[90:91], -v[44:45]
	s_andn2_saveexec_b64 s[0:1], s[2:3]
	s_cbranch_execnz .LBB0_39
	s_branch .LBB0_40
.LBB0_38:
	s_andn2_saveexec_b64 s[0:1], s[2:3]
	s_cbranch_execz .LBB0_40
.LBB0_39:
	s_mov_b32 s2, 0x6dc9c883
	s_mov_b32 s3, 0x3fe45f30
	v_mul_f64 v[40:41], |v[78:79]|, s[2:3]
	s_mov_b32 s2, 0x54442d18
	v_rndne_f64_e32 v[40:41], v[40:41]
	s_mov_b32 s3, 0xbff921fb
	v_fma_f64 v[44:45], v[40:41], s[2:3], |v[78:79]|
	s_mov_b32 s3, 0xbc91a626
	s_mov_b32 s2, 0x33145c00
	v_mul_f64 v[84:85], v[40:41], s[2:3]
	v_add_f64 v[90:91], v[44:45], v[84:85]
	v_fma_f64 v[86:87], s[2:3], v[40:41], v[44:45]
	s_mov_b32 s3, 0x3c91a626
	v_add_f64 v[44:45], v[44:45], -v[90:91]
	v_fma_f64 v[88:89], s[2:3], v[40:41], v[84:85]
	v_add_f64 v[44:45], v[44:45], v[84:85]
	v_add_f64 v[84:85], v[90:91], -v[86:87]
	v_add_f64 v[44:45], v[84:85], v[44:45]
	s_mov_b32 s2, 0x252049c0
	v_add_f64 v[44:45], v[44:45], -v[88:89]
	s_mov_b32 s3, 0xb97b839a
	v_fmac_f64_e32 v[44:45], s[2:3], v[40:41]
	v_add_f64 v[84:85], v[86:87], v[44:45]
	v_add_f64 v[86:87], v[84:85], -v[86:87]
	v_add_f64 v[86:87], v[44:45], -v[86:87]
	v_cvt_i32_f64_e32 v20, v[40:41]
.LBB0_40:
	s_or_b64 exec, exec, s[0:1]
	s_mov_b32 s0, 0x7f3321d2
	s_mov_b32 s1, 0xbfa2d97c
	v_mul_f64 v[92:93], v[62:63], s[0:1]
	s_mov_b32 s0, 0
	s_mov_b32 s1, 0x41d00000
	v_cmp_nlt_f64_e64 s[2:3], |v[92:93]|, s[0:1]
	v_trig_preop_f64 v[94:95], |v[92:93]|, 0
	v_trig_preop_f64 v[90:91], |v[92:93]|, 1
	;; [unrolled: 1-line block ×3, first 2 shown]
                                        ; implicit-def: $vgpr44
                                        ; implicit-def: $vgpr98_vgpr99
                                        ; implicit-def: $vgpr104_vgpr105
	s_and_saveexec_b64 s[0:1], s[2:3]
	s_xor_b64 s[4:5], exec, s[0:1]
	s_cbranch_execz .LBB0_42
; %bb.41:
	s_mov_b32 s0, 0
	s_mov_b32 s1, 0x7b000000
	s_movk_i32 s6, 0xff80
	v_and_b32_e32 v2, 0x7fffffff, v93
	v_ldexp_f64 v[44:45], |v[92:93]|, s6
	v_cmp_ge_f64_e64 vcc, |v[92:93]|, s[0:1]
	s_mov_b32 s0, 0
	s_mov_b32 s1, 0x7ff00000
	v_cndmask_b32_e32 v45, v2, v45, vcc
	v_cndmask_b32_e32 v44, v92, v44, vcc
	v_mul_f64 v[98:99], v[94:95], v[44:45]
	v_mul_f64 v[96:97], v[90:91], v[44:45]
	v_fma_f64 v[100:101], v[94:95], v[44:45], -v[98:99]
	v_add_f64 v[102:103], v[96:97], v[100:101]
	v_add_f64 v[110:111], v[102:103], -v[96:97]
	v_add_f64 v[100:101], v[100:101], -v[110:111]
	;; [unrolled: 1-line block ×4, first 2 shown]
	v_add_f64 v[100:101], v[100:101], v[110:111]
	v_fma_f64 v[96:97], v[90:91], v[44:45], -v[96:97]
	v_mul_f64 v[110:111], v[88:89], v[44:45]
	v_add_f64 v[112:113], v[110:111], v[96:97]
	v_add_f64 v[104:105], v[98:99], v[102:103]
	;; [unrolled: 1-line block ×3, first 2 shown]
	v_ldexp_f64 v[106:107], v[104:105], -2
	v_add_f64 v[98:99], v[104:105], -v[98:99]
	v_add_f64 v[104:105], v[114:115], -v[112:113]
	;; [unrolled: 1-line block ×5, first 2 shown]
	v_add_f64 v[100:101], v[100:101], v[104:105]
	v_add_f64 v[104:105], v[112:113], -v[110:111]
	v_add_f64 v[96:97], v[96:97], -v[104:105]
	;; [unrolled: 1-line block ×5, first 2 shown]
	v_add_f64 v[96:97], v[96:97], v[104:105]
	v_fract_f64_e32 v[108:109], v[106:107]
	v_add_f64 v[102:103], v[98:99], v[114:115]
	v_add_f64 v[96:97], v[96:97], v[100:101]
	v_fma_f64 v[44:45], v[88:89], v[44:45], -v[110:111]
	v_add_f64 v[98:99], v[102:103], -v[98:99]
	v_add_f64 v[44:45], v[44:45], v[96:97]
	v_ldexp_f64 v[96:97], v[108:109], 2
	v_cmp_neq_f64_e64 vcc, |v[106:107]|, s[0:1]
	v_add_f64 v[98:99], v[114:115], -v[98:99]
	v_add_f64 v[44:45], v[98:99], v[44:45]
	v_cndmask_b32_e32 v97, 0, v97, vcc
	v_cndmask_b32_e32 v96, 0, v96, vcc
	v_add_f64 v[98:99], v[102:103], v[96:97]
	v_mov_b32_e32 v2, 0x40100000
	v_cmp_gt_f64_e32 vcc, 0, v[98:99]
	v_mov_b32_e32 v98, 0
	s_mov_b32 s6, 0x33145c07
	v_cndmask_b32_e32 v99, 0, v2, vcc
	v_add_f64 v[96:97], v[96:97], v[98:99]
	v_add_f64 v[100:101], v[102:103], v[96:97]
	v_cvt_i32_f64_e32 v2, v[100:101]
	v_cvt_f64_i32_e32 v[100:101], v2
	v_add_f64 v[96:97], v[96:97], -v[100:101]
	v_add_f64 v[100:101], v[102:103], v[96:97]
	v_add_f64 v[96:97], v[100:101], -v[96:97]
	v_add_f64 v[96:97], v[102:103], -v[96:97]
	v_cmp_le_f64_e32 vcc, 0.5, v[100:101]
	v_add_f64 v[96:97], v[44:45], v[96:97]
	s_mov_b32 s7, 0x3c91a626
	v_addc_co_u32_e64 v44, s[0:1], 0, v2, vcc
	v_mov_b32_e32 v2, 0x3ff00000
	v_cndmask_b32_e32 v99, 0, v2, vcc
	v_add_f64 v[98:99], v[100:101], -v[98:99]
	s_mov_b32 s0, 0x54442d18
	v_add_f64 v[100:101], v[98:99], v[96:97]
	s_mov_b32 s1, 0x3ff921fb
	v_mul_f64 v[102:103], v[100:101], s[0:1]
	v_add_f64 v[98:99], v[100:101], -v[98:99]
	v_fma_f64 v[104:105], v[100:101], s[0:1], -v[102:103]
	v_add_f64 v[96:97], v[96:97], -v[98:99]
	v_fmac_f64_e32 v[104:105], s[6:7], v[100:101]
	v_fmac_f64_e32 v[104:105], s[0:1], v[96:97]
	v_add_f64 v[98:99], v[102:103], v[104:105]
	v_add_f64 v[96:97], v[98:99], -v[102:103]
	v_add_f64 v[104:105], v[104:105], -v[96:97]
	s_andn2_saveexec_b64 s[0:1], s[4:5]
	s_cbranch_execz .LBB0_44
	s_branch .LBB0_43
.LBB0_42:
	s_andn2_saveexec_b64 s[0:1], s[4:5]
	s_cbranch_execz .LBB0_44
.LBB0_43:
	s_mov_b32 s4, 0x6dc9c883
	s_mov_b32 s5, 0x3fe45f30
	v_mul_f64 v[44:45], |v[92:93]|, s[4:5]
	s_mov_b32 s4, 0x54442d18
	v_rndne_f64_e32 v[44:45], v[44:45]
	s_mov_b32 s5, 0xbff921fb
	v_fma_f64 v[96:97], v[44:45], s[4:5], |v[92:93]|
	s_mov_b32 s5, 0xbc91a626
	s_mov_b32 s4, 0x33145c00
	v_mul_f64 v[98:99], v[44:45], s[4:5]
	v_add_f64 v[104:105], v[96:97], v[98:99]
	v_fma_f64 v[100:101], s[4:5], v[44:45], v[96:97]
	s_mov_b32 s5, 0x3c91a626
	v_add_f64 v[96:97], v[96:97], -v[104:105]
	v_fma_f64 v[102:103], s[4:5], v[44:45], v[98:99]
	v_add_f64 v[96:97], v[96:97], v[98:99]
	v_add_f64 v[98:99], v[104:105], -v[100:101]
	v_add_f64 v[96:97], v[98:99], v[96:97]
	s_mov_b32 s4, 0x252049c0
	v_add_f64 v[96:97], v[96:97], -v[102:103]
	s_mov_b32 s5, 0xb97b839a
	v_fmac_f64_e32 v[96:97], s[4:5], v[44:45]
	v_add_f64 v[98:99], v[100:101], v[96:97]
	v_add_f64 v[100:101], v[98:99], -v[100:101]
	v_add_f64 v[104:105], v[96:97], -v[100:101]
	v_cvt_i32_f64_e32 v44, v[44:45]
.LBB0_44:
	s_or_b64 exec, exec, s[0:1]
                                        ; implicit-def: $vgpr45
                                        ; implicit-def: $vgpr106_vgpr107
                                        ; implicit-def: $vgpr108_vgpr109
	s_and_saveexec_b64 s[0:1], s[2:3]
	s_xor_b64 s[2:3], exec, s[0:1]
	s_cbranch_execz .LBB0_46
; %bb.45:
	s_mov_b32 s0, 0
	s_mov_b32 s1, 0x7b000000
	s_movk_i32 s4, 0xff80
	v_and_b32_e32 v2, 0x7fffffff, v93
	v_ldexp_f64 v[96:97], |v[92:93]|, s4
	v_cmp_ge_f64_e64 vcc, |v[92:93]|, s[0:1]
	s_mov_b32 s0, 0
	s_mov_b32 s1, 0x7ff00000
	v_cndmask_b32_e32 v97, v2, v97, vcc
	v_cndmask_b32_e32 v96, v92, v96, vcc
	v_mul_f64 v[102:103], v[94:95], v[96:97]
	v_mul_f64 v[100:101], v[90:91], v[96:97]
	v_fma_f64 v[94:95], v[94:95], v[96:97], -v[102:103]
	v_add_f64 v[106:107], v[100:101], v[94:95]
	v_add_f64 v[114:115], v[106:107], -v[100:101]
	v_add_f64 v[94:95], v[94:95], -v[114:115]
	;; [unrolled: 1-line block ×4, first 2 shown]
	v_fma_f64 v[90:91], v[90:91], v[96:97], -v[100:101]
	v_mul_f64 v[100:101], v[88:89], v[96:97]
	v_add_f64 v[94:95], v[94:95], v[114:115]
	v_add_f64 v[114:115], v[100:101], v[90:91]
	;; [unrolled: 1-line block ×4, first 2 shown]
	v_ldexp_f64 v[110:111], v[108:109], -2
	v_add_f64 v[102:103], v[108:109], -v[102:103]
	v_add_f64 v[108:109], v[116:117], -v[114:115]
	;; [unrolled: 1-line block ×5, first 2 shown]
	v_add_f64 v[94:95], v[94:95], v[108:109]
	v_add_f64 v[108:109], v[114:115], -v[100:101]
	v_add_f64 v[90:91], v[90:91], -v[108:109]
	;; [unrolled: 1-line block ×4, first 2 shown]
	v_add_f64 v[90:91], v[90:91], v[108:109]
	v_fract_f64_e32 v[112:113], v[110:111]
	v_add_f64 v[90:91], v[90:91], v[94:95]
	v_fma_f64 v[88:89], v[88:89], v[96:97], -v[100:101]
	v_add_f64 v[102:103], v[106:107], -v[102:103]
	v_add_f64 v[88:89], v[88:89], v[90:91]
	v_ldexp_f64 v[90:91], v[112:113], 2
	v_cmp_neq_f64_e64 vcc, |v[110:111]|, s[0:1]
	v_add_f64 v[106:107], v[102:103], v[116:117]
	v_mov_b32_e32 v2, 0x40100000
	v_cndmask_b32_e32 v91, 0, v91, vcc
	v_cndmask_b32_e32 v90, 0, v90, vcc
	v_add_f64 v[94:95], v[106:107], v[90:91]
	v_cmp_gt_f64_e32 vcc, 0, v[94:95]
	v_mov_b32_e32 v94, 0
	v_add_f64 v[102:103], v[106:107], -v[102:103]
	v_cndmask_b32_e32 v95, 0, v2, vcc
	v_add_f64 v[90:91], v[90:91], v[94:95]
	v_add_f64 v[96:97], v[106:107], v[90:91]
	v_cvt_i32_f64_e32 v2, v[96:97]
	v_cvt_f64_i32_e32 v[96:97], v2
	v_add_f64 v[90:91], v[90:91], -v[96:97]
	v_add_f64 v[96:97], v[106:107], v[90:91]
	v_cmp_le_f64_e32 vcc, 0.5, v[96:97]
	v_add_f64 v[102:103], v[116:117], -v[102:103]
	v_add_f64 v[90:91], v[96:97], -v[90:91]
	v_addc_co_u32_e64 v45, s[0:1], 0, v2, vcc
	v_mov_b32_e32 v2, 0x3ff00000
	v_add_f64 v[88:89], v[102:103], v[88:89]
	v_add_f64 v[90:91], v[106:107], -v[90:91]
	v_cndmask_b32_e32 v95, 0, v2, vcc
	v_add_f64 v[88:89], v[88:89], v[90:91]
	v_add_f64 v[90:91], v[96:97], -v[94:95]
	v_add_f64 v[94:95], v[90:91], v[88:89]
	s_mov_b32 s0, 0x54442d18
	v_add_f64 v[90:91], v[94:95], -v[90:91]
	s_mov_b32 s1, 0x3ff921fb
	v_add_f64 v[88:89], v[88:89], -v[90:91]
	v_mul_f64 v[90:91], v[94:95], s[0:1]
	s_mov_b32 s4, 0x33145c07
	v_fma_f64 v[96:97], v[94:95], s[0:1], -v[90:91]
	s_mov_b32 s5, 0x3c91a626
	v_fmac_f64_e32 v[96:97], s[4:5], v[94:95]
	v_fmac_f64_e32 v[96:97], s[0:1], v[88:89]
	v_add_f64 v[106:107], v[90:91], v[96:97]
	v_add_f64 v[88:89], v[106:107], -v[90:91]
	v_add_f64 v[108:109], v[96:97], -v[88:89]
	s_andn2_saveexec_b64 s[0:1], s[2:3]
	s_cbranch_execnz .LBB0_47
	s_branch .LBB0_48
.LBB0_46:
	s_andn2_saveexec_b64 s[0:1], s[2:3]
	s_cbranch_execz .LBB0_48
.LBB0_47:
	s_mov_b32 s2, 0x6dc9c883
	s_mov_b32 s3, 0x3fe45f30
	v_mul_f64 v[88:89], |v[92:93]|, s[2:3]
	s_mov_b32 s2, 0x54442d18
	v_rndne_f64_e32 v[88:89], v[88:89]
	s_mov_b32 s3, 0xbff921fb
	v_fma_f64 v[90:91], v[88:89], s[2:3], |v[92:93]|
	s_mov_b32 s3, 0xbc91a626
	s_mov_b32 s2, 0x33145c00
	v_mul_f64 v[96:97], v[88:89], s[2:3]
	v_add_f64 v[102:103], v[90:91], v[96:97]
	v_fma_f64 v[94:95], s[2:3], v[88:89], v[90:91]
	s_mov_b32 s3, 0x3c91a626
	v_add_f64 v[90:91], v[90:91], -v[102:103]
	v_fma_f64 v[100:101], s[2:3], v[88:89], v[96:97]
	v_add_f64 v[90:91], v[90:91], v[96:97]
	v_add_f64 v[96:97], v[102:103], -v[94:95]
	v_add_f64 v[90:91], v[96:97], v[90:91]
	s_mov_b32 s2, 0x252049c0
	v_add_f64 v[90:91], v[90:91], -v[100:101]
	s_mov_b32 s3, 0xb97b839a
	v_fmac_f64_e32 v[90:91], s[2:3], v[88:89]
	v_add_f64 v[106:107], v[94:95], v[90:91]
	v_add_f64 v[94:95], v[106:107], -v[94:95]
	v_add_f64 v[108:109], v[90:91], -v[94:95]
	v_cvt_i32_f64_e32 v45, v[88:89]
.LBB0_48:
	s_or_b64 exec, exec, s[0:1]
	s_mov_b32 s0, 0xe9bba775
	s_mov_b32 s1, 0xbfb5fdbb
	v_mul_f64 v[62:63], v[62:63], s[0:1]
	s_mov_b32 s0, 0
	s_mov_b32 s1, 0x41d00000
	v_cmp_nlt_f64_e64 s[2:3], |v[62:63]|, s[0:1]
	v_trig_preop_f64 v[110:111], |v[62:63]|, 0
	v_trig_preop_f64 v[102:103], |v[62:63]|, 1
	;; [unrolled: 1-line block ×3, first 2 shown]
                                        ; implicit-def: $vgpr52
                                        ; implicit-def: $vgpr88_vgpr89
                                        ; implicit-def: $vgpr90_vgpr91
	s_and_saveexec_b64 s[0:1], s[2:3]
	s_xor_b64 s[4:5], exec, s[0:1]
	s_cbranch_execz .LBB0_50
; %bb.49:
	s_mov_b32 s0, 0
	s_mov_b32 s1, 0x7b000000
	s_movk_i32 s6, 0xff80
	v_and_b32_e32 v2, 0x7fffffff, v63
	v_ldexp_f64 v[88:89], |v[62:63]|, s6
	v_cmp_ge_f64_e64 vcc, |v[62:63]|, s[0:1]
	s_mov_b32 s0, 0
	s_mov_b32 s1, 0x7ff00000
	v_cndmask_b32_e32 v89, v2, v89, vcc
	v_cndmask_b32_e32 v88, v62, v88, vcc
	v_mul_f64 v[94:95], v[110:111], v[88:89]
	v_mul_f64 v[90:91], v[102:103], v[88:89]
	v_fma_f64 v[96:97], v[110:111], v[88:89], -v[94:95]
	v_add_f64 v[112:113], v[90:91], v[96:97]
	v_add_f64 v[120:121], v[112:113], -v[90:91]
	v_add_f64 v[96:97], v[96:97], -v[120:121]
	;; [unrolled: 1-line block ×4, first 2 shown]
	v_add_f64 v[114:115], v[94:95], v[112:113]
	v_add_f64 v[96:97], v[96:97], v[120:121]
	v_fma_f64 v[90:91], v[102:103], v[88:89], -v[90:91]
	v_mul_f64 v[120:121], v[100:101], v[88:89]
	v_add_f64 v[122:123], v[120:121], v[90:91]
	v_add_f64 v[94:95], v[114:115], -v[94:95]
	v_add_f64 v[50:51], v[122:123], v[96:97]
	v_add_f64 v[94:95], v[112:113], -v[94:95]
	v_add_f64 v[112:113], v[94:95], v[50:51]
	v_ldexp_f64 v[116:117], v[114:115], -2
	v_add_f64 v[94:95], v[112:113], -v[94:95]
	v_add_f64 v[114:115], v[50:51], -v[122:123]
	;; [unrolled: 1-line block ×6, first 2 shown]
	v_add_f64 v[50:51], v[96:97], v[50:51]
	v_add_f64 v[96:97], v[122:123], -v[120:121]
	v_add_f64 v[90:91], v[90:91], -v[96:97]
	;; [unrolled: 1-line block ×4, first 2 shown]
	v_add_f64 v[90:91], v[90:91], v[96:97]
	v_fract_f64_e32 v[118:119], v[116:117]
	v_add_f64 v[50:51], v[90:91], v[50:51]
	v_fma_f64 v[88:89], v[100:101], v[88:89], -v[120:121]
	v_add_f64 v[50:51], v[88:89], v[50:51]
	v_ldexp_f64 v[88:89], v[118:119], 2
	v_cmp_neq_f64_e64 vcc, |v[116:117]|, s[0:1]
	v_mov_b32_e32 v2, 0x40100000
	v_add_f64 v[50:51], v[94:95], v[50:51]
	v_cndmask_b32_e32 v89, 0, v89, vcc
	v_cndmask_b32_e32 v88, 0, v88, vcc
	v_add_f64 v[90:91], v[112:113], v[88:89]
	v_cmp_gt_f64_e32 vcc, 0, v[90:91]
	v_mov_b32_e32 v90, 0
	s_mov_b32 s6, 0x33145c07
	v_cndmask_b32_e32 v91, 0, v2, vcc
	v_add_f64 v[88:89], v[88:89], v[90:91]
	v_add_f64 v[94:95], v[112:113], v[88:89]
	v_cvt_i32_f64_e32 v2, v[94:95]
	v_cvt_f64_i32_e32 v[94:95], v2
	v_add_f64 v[88:89], v[88:89], -v[94:95]
	v_add_f64 v[94:95], v[112:113], v[88:89]
	v_cmp_le_f64_e32 vcc, 0.5, v[94:95]
	v_add_f64 v[88:89], v[94:95], -v[88:89]
	v_add_f64 v[88:89], v[112:113], -v[88:89]
	v_addc_co_u32_e64 v52, s[0:1], 0, v2, vcc
	v_mov_b32_e32 v2, 0x3ff00000
	v_cndmask_b32_e32 v91, 0, v2, vcc
	v_add_f64 v[50:51], v[50:51], v[88:89]
	v_add_f64 v[88:89], v[94:95], -v[90:91]
	s_mov_b32 s0, 0x54442d18
	v_add_f64 v[90:91], v[88:89], v[50:51]
	s_mov_b32 s1, 0x3ff921fb
	v_mul_f64 v[94:95], v[90:91], s[0:1]
	v_add_f64 v[88:89], v[90:91], -v[88:89]
	v_fma_f64 v[96:97], v[90:91], s[0:1], -v[94:95]
	s_mov_b32 s7, 0x3c91a626
	v_add_f64 v[50:51], v[50:51], -v[88:89]
	v_fmac_f64_e32 v[96:97], s[6:7], v[90:91]
	v_fmac_f64_e32 v[96:97], s[0:1], v[50:51]
	v_add_f64 v[88:89], v[94:95], v[96:97]
	v_add_f64 v[50:51], v[88:89], -v[94:95]
	v_add_f64 v[90:91], v[96:97], -v[50:51]
	s_andn2_saveexec_b64 s[0:1], s[4:5]
	s_cbranch_execz .LBB0_52
	s_branch .LBB0_51
.LBB0_50:
	s_andn2_saveexec_b64 s[0:1], s[4:5]
	s_cbranch_execz .LBB0_52
.LBB0_51:
	s_mov_b32 s4, 0x6dc9c883
	s_mov_b32 s5, 0x3fe45f30
	v_mul_f64 v[50:51], |v[62:63]|, s[4:5]
	s_mov_b32 s4, 0x54442d18
	v_rndne_f64_e32 v[50:51], v[50:51]
	s_mov_b32 s5, 0xbff921fb
	v_fma_f64 v[88:89], v[50:51], s[4:5], |v[62:63]|
	s_mov_b32 s5, 0xbc91a626
	s_mov_b32 s4, 0x33145c00
	v_mul_f64 v[94:95], v[50:51], s[4:5]
	v_add_f64 v[112:113], v[88:89], v[94:95]
	v_fma_f64 v[90:91], s[4:5], v[50:51], v[88:89]
	s_mov_b32 s5, 0x3c91a626
	v_add_f64 v[88:89], v[88:89], -v[112:113]
	v_fma_f64 v[96:97], s[4:5], v[50:51], v[94:95]
	v_add_f64 v[88:89], v[88:89], v[94:95]
	v_add_f64 v[94:95], v[112:113], -v[90:91]
	v_add_f64 v[88:89], v[94:95], v[88:89]
	s_mov_b32 s4, 0x252049c0
	v_add_f64 v[94:95], v[88:89], -v[96:97]
	s_mov_b32 s5, 0xb97b839a
	v_fmac_f64_e32 v[94:95], s[4:5], v[50:51]
	v_add_f64 v[88:89], v[90:91], v[94:95]
	v_add_f64 v[90:91], v[88:89], -v[90:91]
	v_add_f64 v[90:91], v[94:95], -v[90:91]
	v_cvt_i32_f64_e32 v52, v[50:51]
.LBB0_52:
	s_or_b64 exec, exec, s[0:1]
                                        ; implicit-def: $vgpr53
                                        ; implicit-def: $vgpr94_vgpr95
                                        ; implicit-def: $vgpr96_vgpr97
	s_and_saveexec_b64 s[0:1], s[2:3]
	s_xor_b64 s[2:3], exec, s[0:1]
	s_cbranch_execz .LBB0_54
; %bb.53:
	s_mov_b32 s0, 0
	s_mov_b32 s1, 0x7b000000
	s_movk_i32 s4, 0xff80
	v_and_b32_e32 v2, 0x7fffffff, v63
	v_ldexp_f64 v[50:51], |v[62:63]|, s4
	v_cmp_ge_f64_e64 vcc, |v[62:63]|, s[0:1]
	s_mov_b32 s0, 0
	s_mov_b32 s1, 0x7ff00000
	v_cndmask_b32_e32 v51, v2, v51, vcc
	v_cndmask_b32_e32 v50, v62, v50, vcc
	v_mul_f64 v[96:97], v[110:111], v[50:51]
	v_mul_f64 v[94:95], v[102:103], v[50:51]
	v_fma_f64 v[110:111], v[110:111], v[50:51], -v[96:97]
	v_add_f64 v[112:113], v[94:95], v[110:111]
	v_add_f64 v[120:121], v[112:113], -v[94:95]
	v_add_f64 v[110:111], v[110:111], -v[120:121]
	v_add_f64 v[120:121], v[112:113], -v[120:121]
	v_add_f64 v[120:121], v[94:95], -v[120:121]
	v_fma_f64 v[94:95], v[102:103], v[50:51], -v[94:95]
	v_mul_f64 v[102:103], v[100:101], v[50:51]
	v_add_f64 v[110:111], v[110:111], v[120:121]
	v_add_f64 v[120:121], v[102:103], v[94:95]
	;; [unrolled: 1-line block ×4, first 2 shown]
	v_ldexp_f64 v[116:117], v[114:115], -2
	v_add_f64 v[96:97], v[114:115], -v[96:97]
	v_add_f64 v[114:115], v[122:123], -v[120:121]
	;; [unrolled: 1-line block ×5, first 2 shown]
	v_add_f64 v[110:111], v[110:111], v[114:115]
	v_add_f64 v[114:115], v[120:121], -v[102:103]
	v_add_f64 v[94:95], v[94:95], -v[114:115]
	;; [unrolled: 1-line block ×5, first 2 shown]
	v_add_f64 v[94:95], v[94:95], v[114:115]
	v_fract_f64_e32 v[118:119], v[116:117]
	v_add_f64 v[112:113], v[96:97], v[122:123]
	v_add_f64 v[94:95], v[94:95], v[110:111]
	v_fma_f64 v[50:51], v[100:101], v[50:51], -v[102:103]
	v_add_f64 v[96:97], v[112:113], -v[96:97]
	v_add_f64 v[50:51], v[50:51], v[94:95]
	v_ldexp_f64 v[94:95], v[118:119], 2
	v_cmp_neq_f64_e64 vcc, |v[116:117]|, s[0:1]
	v_add_f64 v[96:97], v[122:123], -v[96:97]
	v_add_f64 v[50:51], v[96:97], v[50:51]
	v_cndmask_b32_e32 v95, 0, v95, vcc
	v_cndmask_b32_e32 v94, 0, v94, vcc
	v_add_f64 v[96:97], v[112:113], v[94:95]
	v_mov_b32_e32 v2, 0x40100000
	v_cmp_gt_f64_e32 vcc, 0, v[96:97]
	v_mov_b32_e32 v96, 0
	s_mov_b32 s4, 0x33145c07
	v_cndmask_b32_e32 v97, 0, v2, vcc
	v_add_f64 v[94:95], v[94:95], v[96:97]
	v_add_f64 v[100:101], v[112:113], v[94:95]
	v_cvt_i32_f64_e32 v2, v[100:101]
	v_cvt_f64_i32_e32 v[100:101], v2
	v_add_f64 v[94:95], v[94:95], -v[100:101]
	v_add_f64 v[100:101], v[112:113], v[94:95]
	v_cmp_le_f64_e32 vcc, 0.5, v[100:101]
	v_add_f64 v[94:95], v[100:101], -v[94:95]
	v_add_f64 v[94:95], v[112:113], -v[94:95]
	v_addc_co_u32_e64 v53, s[0:1], 0, v2, vcc
	v_mov_b32_e32 v2, 0x3ff00000
	v_cndmask_b32_e32 v97, 0, v2, vcc
	v_add_f64 v[50:51], v[50:51], v[94:95]
	v_add_f64 v[94:95], v[100:101], -v[96:97]
	s_mov_b32 s0, 0x54442d18
	v_add_f64 v[96:97], v[94:95], v[50:51]
	s_mov_b32 s1, 0x3ff921fb
	v_mul_f64 v[100:101], v[96:97], s[0:1]
	v_add_f64 v[94:95], v[96:97], -v[94:95]
	v_fma_f64 v[102:103], v[96:97], s[0:1], -v[100:101]
	s_mov_b32 s5, 0x3c91a626
	v_add_f64 v[50:51], v[50:51], -v[94:95]
	v_fmac_f64_e32 v[102:103], s[4:5], v[96:97]
	v_fmac_f64_e32 v[102:103], s[0:1], v[50:51]
	v_add_f64 v[94:95], v[100:101], v[102:103]
	v_add_f64 v[50:51], v[94:95], -v[100:101]
	v_add_f64 v[96:97], v[102:103], -v[50:51]
	s_andn2_saveexec_b64 s[0:1], s[2:3]
	s_cbranch_execnz .LBB0_55
	s_branch .LBB0_56
.LBB0_54:
	s_andn2_saveexec_b64 s[0:1], s[2:3]
	s_cbranch_execz .LBB0_56
.LBB0_55:
	s_mov_b32 s2, 0x6dc9c883
	s_mov_b32 s3, 0x3fe45f30
	v_mul_f64 v[50:51], |v[62:63]|, s[2:3]
	s_mov_b32 s2, 0x54442d18
	v_rndne_f64_e32 v[50:51], v[50:51]
	s_mov_b32 s3, 0xbff921fb
	v_fma_f64 v[94:95], v[50:51], s[2:3], |v[62:63]|
	s_mov_b32 s3, 0xbc91a626
	s_mov_b32 s2, 0x33145c00
	v_mul_f64 v[100:101], v[50:51], s[2:3]
	v_add_f64 v[110:111], v[94:95], v[100:101]
	v_fma_f64 v[96:97], s[2:3], v[50:51], v[94:95]
	s_mov_b32 s3, 0x3c91a626
	v_add_f64 v[94:95], v[94:95], -v[110:111]
	v_fma_f64 v[102:103], s[2:3], v[50:51], v[100:101]
	v_add_f64 v[94:95], v[94:95], v[100:101]
	v_add_f64 v[100:101], v[110:111], -v[96:97]
	v_add_f64 v[94:95], v[100:101], v[94:95]
	s_mov_b32 s2, 0x252049c0
	v_add_f64 v[100:101], v[94:95], -v[102:103]
	s_mov_b32 s3, 0xb97b839a
	v_fmac_f64_e32 v[100:101], s[2:3], v[50:51]
	v_add_f64 v[94:95], v[96:97], v[100:101]
	v_add_f64 v[96:97], v[94:95], -v[96:97]
	v_add_f64 v[96:97], v[100:101], -v[96:97]
	v_cvt_i32_f64_e32 v53, v[50:51]
.LBB0_56:
	s_or_b64 exec, exec, s[0:1]
	v_mov_b64_e32 v[72:73], v[124:125]
	v_mov_b64_e32 v[74:75], v[126:127]
	scratch_load_dwordx4 v[124:127], off, off offset:28 ; 16-byte Folded Reload
	v_mul_f64 v[50:51], v[98:99], v[98:99]
	v_mul_f64 v[100:101], v[50:51], 0.5
	v_add_f64 v[110:111], -v[100:101], 1.0
	s_mov_b32 s0, 0x9037ab78
	v_add_f64 v[102:103], -v[110:111], 1.0
	s_mov_b32 s1, 0x3e21eeb6
	s_mov_b32 s2, 0x46cc5e42
	v_add_f64 v[102:103], v[102:103], -v[100:101]
	s_mov_b32 s3, 0xbda907db
	s_mov_b32 s4, 0xa17f65f6
	v_mov_b64_e32 v[100:101], s[0:1]
	s_mov_b32 s5, 0xbe927e4f
	v_fma_f64 v[112:113], s[2:3], v[50:51], v[100:101]
	s_mov_b32 s6, 0x19f4ec90
	v_fma_f64 v[112:113], v[50:51], v[112:113], s[4:5]
	s_mov_b32 s7, 0x3efa01a0
	s_mov_b32 s8, 0x16c16967
	v_fma_f64 v[112:113], v[50:51], v[112:113], s[6:7]
	s_mov_b32 s9, 0xbf56c16c
	;; [unrolled: 3-line block ×3, first 2 shown]
	s_mov_b32 s0, 0xb42fdfa7
	v_fma_f64 v[112:113], v[50:51], v[112:113], s[10:11]
	v_fma_f64 v[54:55], v[98:99], -v[104:105], v[102:103]
	v_mul_f64 v[102:103], v[50:51], v[50:51]
	s_mov_b32 s1, 0xbe5ae600
	s_mov_b32 s12, 0xf9a43bb8
	v_fmac_f64_e32 v[54:55], v[102:103], v[112:113]
	s_mov_b32 s13, 0x3de5e0b2
	s_mov_b32 s14, 0x796cde01
	v_mov_b64_e32 v[102:103], s[0:1]
	s_mov_b32 s15, 0x3ec71de3
	v_fma_f64 v[112:113], s[12:13], v[50:51], v[102:103]
	s_mov_b32 s16, 0x19e83e5c
	v_fma_f64 v[112:113], v[50:51], v[112:113], s[14:15]
	s_mov_b32 s17, 0xbf2a01a0
	s_mov_b32 s18, 0x11110bb3
	v_fma_f64 v[112:113], v[50:51], v[112:113], s[16:17]
	s_mov_b32 s19, 0x3f811111
	v_fma_f64 v[112:113], v[50:51], v[112:113], s[18:19]
	v_mul_f64 v[2:3], v[98:99], -v[50:51]
	v_mul_f64 v[4:5], v[104:105], 0.5
	v_fmac_f64_e32 v[4:5], v[2:3], v[112:113]
	v_fma_f64 v[4:5], v[50:51], v[4:5], -v[104:105]
	v_mul_f64 v[50:51], v[106:107], v[106:107]
	v_mul_f64 v[104:105], v[50:51], 0.5
	v_add_f64 v[112:113], -v[104:105], 1.0
	v_add_f64 v[114:115], -v[112:113], 1.0
	v_add_f64 v[104:105], v[114:115], -v[104:105]
	v_fma_f64 v[114:115], s[2:3], v[50:51], v[100:101]
	v_fma_f64 v[114:115], v[50:51], v[114:115], s[4:5]
	;; [unrolled: 1-line block ×5, first 2 shown]
	v_fma_f64 v[104:105], v[106:107], -v[108:109], v[104:105]
	v_mul_f64 v[116:117], v[50:51], v[50:51]
	v_fmac_f64_e32 v[104:105], v[116:117], v[114:115]
	v_fma_f64 v[114:115], s[12:13], v[50:51], v[102:103]
	v_fma_f64 v[114:115], v[50:51], v[114:115], s[14:15]
	;; [unrolled: 1-line block ×4, first 2 shown]
	v_mul_f64 v[116:117], v[106:107], -v[50:51]
	v_mul_f64 v[118:119], v[108:109], 0.5
	v_fmac_f64_e32 v[118:119], v[116:117], v[114:115]
	v_fma_f64 v[50:51], v[50:51], v[118:119], -v[108:109]
	s_mov_b32 s21, 0xbfc55555
	s_mov_b32 s20, s10
	v_fmac_f64_e32 v[50:51], s[20:21], v[116:117]
	v_and_b32_e32 v6, 1, v45
	v_add_f64 v[104:105], v[112:113], v[104:105]
	v_add_f64 v[50:51], v[106:107], -v[50:51]
	v_cmp_eq_u32_e32 vcc, 0, v6
	s_mov_b32 s0, 0x667f3bcd
	s_mov_b32 s1, 0x3fe6a09e
	v_cndmask_b32_e32 v6, v104, v50, vcc
	v_cndmask_b32_e32 v7, v105, v51, vcc
	v_add_f64 v[50:51], v[16:17], -v[72:73]
	v_add_f64 v[104:105], v[18:19], -v[74:75]
	v_add_f64 v[116:117], v[50:51], v[104:105]
	v_add_f64 v[118:119], v[104:105], -v[50:51]
	s_waitcnt vmcnt(0)
	v_add_f64 v[50:51], v[12:13], -v[124:125]
	v_add_f64 v[104:105], v[14:15], -v[126:127]
	v_fma_f64 v[120:121], 0, v[50:51], v[104:105]
	v_fma_f64 v[122:123], v[104:105], 0, -v[50:51]
	v_add_f64 v[50:51], v[8:9], -v[32:33]
	v_add_f64 v[104:105], v[10:11], -v[34:35]
	;; [unrolled: 1-line block ×3, first 2 shown]
	v_add_f64 v[50:51], -v[104:105], -v[50:51]
	v_mul_f64 v[112:113], v[106:107], s[0:1]
	v_mul_f64 v[114:115], v[50:51], s[0:1]
	v_fmac_f64_e32 v[4:5], s[20:21], v[2:3]
	v_fma_f64 v[50:51], v[116:117], s[0:1], -v[112:113]
	v_fma_f64 v[106:107], v[118:119], s[0:1], -v[114:115]
	v_add_f64 v[2:3], v[98:99], -v[4:5]
	v_and_b32_e32 v4, 1, v44
	v_fma_f64 v[104:105], 0, v[50:51], v[106:107]
	v_fma_f64 v[106:107], v[106:107], 0, -v[50:51]
	v_add_f64 v[50:51], v[110:111], v[54:55]
	v_cmp_eq_u32_e32 vcc, 0, v4
	v_xor_b32_e32 v3, 0x80000000, v3
	v_lshlrev_b32_e32 v4, 30, v45
	v_cndmask_b32_e32 v3, v3, v51, vcc
	s_movk_i32 s23, 0x1f8
	v_xor_b32_e32 v4, v4, v93
	s_brev_b32 s22, 1
	v_lshlrev_b32_e32 v5, 30, v44
	v_add_f64 v[54:55], v[26:27], -v[30:31]
	v_cndmask_b32_e32 v2, v2, v50, vcc
	v_cmp_class_f64_e64 vcc, v[92:93], s23
	v_bitop3_b32 v3, v3, v5, s22 bitop3:0x78
	v_mov_b32_e32 v44, 0x7ff80000
	v_bitop3_b32 v5, v7, v4, s22 bitop3:0x78
	v_add_f64 v[50:51], v[24:25], -v[28:29]
	v_add_f64 v[110:111], v[54:55], -v[122:123]
	v_cndmask_b32_e32 v4, 0, v6, vcc
	v_cndmask_b32_e32 v5, v44, v5, vcc
	v_add_f64 v[108:109], v[50:51], -v[120:121]
	v_add_f64 v[6:7], v[110:111], v[106:107]
	v_mov_b64_e32 v[40:41], v[10:11]
	v_cndmask_b32_e32 v2, 0, v2, vcc
	v_cndmask_b32_e32 v3, v44, v3, vcc
	v_add_f64 v[92:93], v[108:109], v[104:105]
	v_mov_b64_e32 v[38:39], v[8:9]
	v_mul_f64 v[8:9], v[6:7], v[4:5]
	v_fma_f64 v[98:99], v[92:93], v[2:3], -v[8:9]
	v_mul_f64 v[92:93], v[92:93], v[4:5]
	v_fmac_f64_e32 v[92:93], v[6:7], v[2:3]
	v_mul_f64 v[2:3], v[80:81], v[80:81]
	v_mul_f64 v[4:5], v[2:3], 0.5
	v_add_f64 v[6:7], -v[4:5], 1.0
	v_add_f64 v[8:9], -v[6:7], 1.0
	v_add_f64 v[4:5], v[8:9], -v[4:5]
	v_fma_f64 v[8:9], s[2:3], v[2:3], v[100:101]
	v_fma_f64 v[8:9], v[2:3], v[8:9], s[4:5]
	;; [unrolled: 1-line block ×5, first 2 shown]
	v_fma_f64 v[4:5], v[80:81], -v[82:83], v[4:5]
	v_mul_f64 v[10:11], v[2:3], v[2:3]
	v_fmac_f64_e32 v[4:5], v[10:11], v[8:9]
	v_fma_f64 v[8:9], s[12:13], v[2:3], v[102:103]
	v_fma_f64 v[8:9], v[2:3], v[8:9], s[14:15]
	v_mov_b64_e32 v[66:67], v[34:35]
	v_fma_f64 v[8:9], v[2:3], v[8:9], s[16:17]
	v_mov_b64_e32 v[64:65], v[32:33]
	v_mov_b64_e32 v[34:35], v[14:15]
	v_fma_f64 v[8:9], v[2:3], v[8:9], s[18:19]
	v_mul_f64 v[10:11], v[80:81], -v[2:3]
	v_mov_b64_e32 v[32:33], v[12:13]
	v_mul_f64 v[12:13], v[82:83], 0.5
	v_fmac_f64_e32 v[12:13], v[10:11], v[8:9]
	v_mul_f64 v[8:9], v[84:85], v[84:85]
	v_fma_f64 v[2:3], v[2:3], v[12:13], -v[82:83]
	v_mul_f64 v[12:13], v[8:9], 0.5
	v_add_f64 v[82:83], -v[12:13], 1.0
	v_add_f64 v[14:15], -v[82:83], 1.0
	v_add_f64 v[12:13], v[14:15], -v[12:13]
	v_fma_f64 v[14:15], s[2:3], v[8:9], v[100:101]
	v_fma_f64 v[14:15], v[8:9], v[14:15], s[4:5]
	;; [unrolled: 1-line block ×4, first 2 shown]
	v_mov_b64_e32 v[60:61], v[18:19]
	v_fma_f64 v[14:15], v[8:9], v[14:15], s[10:11]
	v_fma_f64 v[12:13], v[84:85], -v[86:87], v[12:13]
	v_mov_b64_e32 v[58:59], v[16:17]
	v_mul_f64 v[16:17], v[8:9], v[8:9]
	v_fmac_f64_e32 v[12:13], v[16:17], v[14:15]
	v_fma_f64 v[14:15], s[12:13], v[8:9], v[102:103]
	v_fma_f64 v[14:15], v[8:9], v[14:15], s[14:15]
	;; [unrolled: 1-line block ×4, first 2 shown]
	v_mul_f64 v[16:17], v[84:85], -v[8:9]
	v_mul_f64 v[18:19], v[86:87], 0.5
	v_fmac_f64_e32 v[18:19], v[16:17], v[14:15]
	v_fma_f64 v[8:9], v[8:9], v[18:19], -v[86:87]
	v_fmac_f64_e32 v[8:9], s[20:21], v[16:17]
	v_and_b32_e32 v14, 1, v20
	v_add_f64 v[12:13], v[82:83], v[12:13]
	v_add_f64 v[8:9], v[84:85], -v[8:9]
	v_cmp_eq_u32_e32 vcc, 0, v14
	v_add_f64 v[4:5], v[6:7], v[4:5]
	v_fmac_f64_e32 v[2:3], s[20:21], v[10:11]
	v_and_b32_e32 v6, 1, v21
	v_cndmask_b32_e32 v14, v12, v8, vcc
	v_cndmask_b32_e32 v15, v13, v9, vcc
	v_add_f64 v[2:3], v[80:81], -v[2:3]
	v_cmp_eq_u32_e32 vcc, 0, v6
	v_xor_b32_e32 v3, 0x80000000, v3
	v_add_f64 v[8:9], v[50:51], v[120:121]
	v_cndmask_b32_e32 v2, v2, v4, vcc
	v_lshlrev_b32_e32 v4, 30, v20
	v_cndmask_b32_e32 v3, v3, v5, vcc
	v_xor_b32_e32 v4, v4, v79
	v_lshlrev_b32_e32 v5, 30, v21
	v_add_f64 v[12:13], v[54:55], v[122:123]
	v_fmac_f64_e32 v[112:113], s[0:1], v[116:117]
	v_fmac_f64_e32 v[114:115], s[0:1], v[118:119]
	v_cmp_class_f64_e64 vcc, v[78:79], s23
	v_bitop3_b32 v3, v3, v5, s22 bitop3:0x78
	v_bitop3_b32 v5, v15, v4, s22 bitop3:0x78
	v_cndmask_b32_e32 v4, 0, v14, vcc
	v_cndmask_b32_e32 v5, v44, v5, vcc
	v_add_f64 v[6:7], v[8:9], -v[112:113]
	v_add_f64 v[10:11], v[12:13], -v[114:115]
	v_cndmask_b32_e32 v2, 0, v2, vcc
	v_cndmask_b32_e32 v3, v44, v3, vcc
	v_mul_f64 v[14:15], v[10:11], v[4:5]
	v_mul_f64 v[78:79], v[6:7], v[4:5]
	v_fma_f64 v[80:81], v[6:7], v[2:3], -v[14:15]
	v_fmac_f64_e32 v[78:79], v[10:11], v[2:3]
	v_mul_f64 v[2:3], v[70:71], v[70:71]
	v_mul_f64 v[4:5], v[2:3], 0.5
	v_add_f64 v[6:7], -v[4:5], 1.0
	v_add_f64 v[10:11], -v[6:7], 1.0
	v_add_f64 v[4:5], v[10:11], -v[4:5]
	v_fma_f64 v[10:11], s[2:3], v[2:3], v[100:101]
	v_fma_f64 v[10:11], v[2:3], v[10:11], s[4:5]
	;; [unrolled: 1-line block ×5, first 2 shown]
	v_fma_f64 v[4:5], v[70:71], -v[22:23], v[4:5]
	v_mul_f64 v[14:15], v[2:3], v[2:3]
	v_fmac_f64_e32 v[4:5], v[14:15], v[10:11]
	v_fma_f64 v[10:11], s[12:13], v[2:3], v[102:103]
	v_fma_f64 v[10:11], v[2:3], v[10:11], s[14:15]
	;; [unrolled: 1-line block ×4, first 2 shown]
	v_mul_f64 v[14:15], v[70:71], -v[2:3]
	v_mul_f64 v[16:17], v[22:23], 0.5
	v_fmac_f64_e32 v[16:17], v[14:15], v[10:11]
	v_mul_f64 v[10:11], v[42:43], v[42:43]
	v_fma_f64 v[2:3], v[2:3], v[16:17], -v[22:23]
	v_mul_f64 v[16:17], v[10:11], 0.5
	v_add_f64 v[18:19], -v[16:17], 1.0
	v_add_f64 v[20:21], -v[18:19], 1.0
	v_add_f64 v[16:17], v[20:21], -v[16:17]
	v_fma_f64 v[20:21], s[2:3], v[10:11], v[100:101]
	v_fma_f64 v[20:21], v[10:11], v[20:21], s[4:5]
	;; [unrolled: 1-line block ×3, first 2 shown]
	v_fmac_f64_e32 v[2:3], s[20:21], v[14:15]
	v_fma_f64 v[20:21], v[10:11], v[20:21], s[8:9]
	v_add_f64 v[4:5], v[6:7], v[4:5]
	v_add_f64 v[2:3], v[70:71], -v[2:3]
	v_and_b32_e32 v6, 1, v1
	v_fma_f64 v[20:21], v[10:11], v[20:21], s[10:11]
	v_fma_f64 v[16:17], v[42:43], -v[76:77], v[16:17]
	v_mul_f64 v[50:51], v[10:11], v[10:11]
	v_cmp_eq_u32_e32 vcc, 0, v6
	v_xor_b32_e32 v3, 0x80000000, v3
	v_fmac_f64_e32 v[16:17], v[50:51], v[20:21]
	v_cndmask_b32_e32 v20, v2, v4, vcc
	v_cndmask_b32_e32 v21, v3, v5, vcc
	v_fma_f64 v[4:5], s[12:13], v[10:11], v[102:103]
	v_fma_f64 v[4:5], v[10:11], v[4:5], s[14:15]
	;; [unrolled: 1-line block ×4, first 2 shown]
	v_mul_f64 v[6:7], v[42:43], -v[10:11]
	v_mul_f64 v[14:15], v[76:77], 0.5
	v_fmac_f64_e32 v[14:15], v[6:7], v[4:5]
	v_lshlrev_b32_e32 v4, 30, v1
	scratch_load_dword v1, off, off offset:164 ; 4-byte Folded Reload
	v_fma_f64 v[10:11], v[10:11], v[14:15], -v[76:77]
	v_fmac_f64_e32 v[10:11], s[20:21], v[6:7]
	v_add_f64 v[6:7], v[42:43], -v[10:11]
	v_add_f64 v[2:3], v[18:19], v[16:17]
	v_cmp_class_f64_e64 vcc, v[68:69], s23
	v_add_f64 v[12:13], v[12:13], v[114:115]
	v_bitop3_b32 v5, v21, v4, s22 bitop3:0x78
	v_add_f64 v[8:9], v[8:9], v[112:113]
	v_cndmask_b32_e32 v4, 0, v20, vcc
	v_cndmask_b32_e32 v5, v44, v5, vcc
	v_add_f64 v[22:23], v[38:39], v[64:65]
	scratch_load_dwordx2 v[38:39], off, off offset:140 ; 8-byte Folded Reload
	v_add_f64 v[20:21], v[40:41], v[66:67]
	v_add_f64 v[14:15], v[24:25], v[28:29]
	;; [unrolled: 1-line block ×3, first 2 shown]
	v_lshlrev_b32_e32 v121, 3, v0
	s_waitcnt vmcnt(1)
	v_and_b32_e32 v10, 1, v1
	v_cmp_eq_u32_e64 s[0:1], 0, v10
	v_add_f64 v[10:11], v[58:59], v[72:73]
	s_nop 0
	v_cndmask_b32_e64 v2, v2, v6, s[0:1]
	v_lshlrev_b32_e32 v6, 30, v1
	v_cndmask_b32_e64 v3, v3, v7, s[0:1]
	v_xor_b32_e32 v6, v6, v69
	v_bitop3_b32 v3, v3, v6, s22 bitop3:0x78
	v_cndmask_b32_e32 v2, 0, v2, vcc
	v_cndmask_b32_e32 v3, v44, v3, vcc
	v_mul_f64 v[6:7], v[12:13], v[2:3]
	v_fma_f64 v[70:71], v[8:9], v[4:5], -v[6:7]
	v_mul_f64 v[68:69], v[8:9], v[2:3]
	v_add_f64 v[8:9], v[34:35], v[126:127]
	scratch_load_dword v1, off, off offset:128 ; 4-byte Folded Reload
	scratch_load_dwordx2 v[34:35], off, off offset:132 ; 8-byte Folded Reload
	v_fmac_f64_e32 v[68:69], v[12:13], v[4:5]
	v_add_f64 v[12:13], v[60:61], v[74:75]
	v_add_f64 v[2:3], v[10:11], -v[22:23]
	v_add_f64 v[16:17], v[12:13], -v[20:21]
	v_fma_f64 v[24:25], 0, v[2:3], v[16:17]
	v_fma_f64 v[26:27], v[16:17], 0, -v[2:3]
	v_add_f64 v[6:7], v[32:33], v[124:125]
	v_add_f64 v[18:19], v[30:31], -v[8:9]
	v_add_f64 v[4:5], v[14:15], -v[6:7]
	;; [unrolled: 1-line block ×4, first 2 shown]
	v_add_f64 v[24:25], v[4:5], v[24:25]
	v_add_f64 v[26:27], v[18:19], v[26:27]
	;; [unrolled: 1-line block ×6, first 2 shown]
	v_add_f64 v[14:15], v[6:7], -v[10:11]
	v_add_f64 v[20:21], v[8:9], -v[12:13]
	v_add_f64 v[6:7], v[6:7], v[10:11]
	v_add_f64 v[10:11], v[110:111], -v[106:107]
	s_waitcnt vmcnt(1)
	v_and_b32_e32 v40, 1, v1
	s_waitcnt vmcnt(0)
	v_mul_f64 v[2:3], v[34:35], v[34:35]
	v_mul_f64 v[32:33], v[2:3], 0.5
	v_fma_f64 v[72:73], s[2:3], v[2:3], v[100:101]
	v_add_f64 v[50:51], -v[32:33], 1.0
	v_fma_f64 v[72:73], v[2:3], v[72:73], s[4:5]
	v_fma_f64 v[72:73], v[2:3], v[72:73], s[6:7]
	v_add_f64 v[74:75], -v[50:51], 1.0
	v_fma_f64 v[72:73], v[2:3], v[72:73], s[8:9]
	v_add_f64 v[32:33], v[74:75], -v[32:33]
	v_mul_f64 v[54:55], v[2:3], v[2:3]
	v_fma_f64 v[72:73], v[2:3], v[72:73], s[10:11]
	v_fma_f64 v[32:33], v[34:35], -v[38:39], v[32:33]
	v_fmac_f64_e32 v[32:33], v[54:55], v[72:73]
	v_fma_f64 v[54:55], s[12:13], v[2:3], v[102:103]
	v_fma_f64 v[54:55], v[2:3], v[54:55], s[14:15]
	;; [unrolled: 1-line block ×3, first 2 shown]
	v_add_f64 v[32:33], v[50:51], v[32:33]
	v_mul_f64 v[50:51], v[34:35], -v[2:3]
	v_fma_f64 v[54:55], v[2:3], v[54:55], s[18:19]
	v_mul_f64 v[72:73], v[38:39], 0.5
	v_fmac_f64_e32 v[72:73], v[50:51], v[54:55]
	v_fma_f64 v[2:3], v[2:3], v[72:73], -v[38:39]
	v_fmac_f64_e32 v[2:3], s[20:21], v[50:51]
	v_add_f64 v[2:3], v[34:35], -v[2:3]
	scratch_load_dwordx2 v[34:35], off, off offset:156 ; 8-byte Folded Reload
	v_cmp_eq_u32_e32 vcc, 0, v40
	v_xor_b32_e32 v3, 0x80000000, v3
	scratch_load_dwordx2 v[38:39], off, off offset:84 ; 8-byte Folded Reload
	v_cndmask_b32_e32 v2, v2, v32, vcc
	v_lshlrev_b32_e32 v32, 30, v1
	scratch_load_dword v1, off, off offset:148 ; 4-byte Folded Reload
	v_cndmask_b32_e32 v3, v3, v33, vcc
	v_bitop3_b32 v3, v3, v32, s22 bitop3:0x78
	v_cmp_class_f64_e64 vcc, v[56:57], s23
	s_waitcnt vmcnt(0)
	v_and_b32_e32 v40, 1, v1
	v_cndmask_b32_e32 v32, 0, v2, vcc
	v_cndmask_b32_e32 v33, v44, v3, vcc
	v_mul_f64 v[2:3], v[48:49], v[48:49]
	v_mul_f64 v[50:51], v[2:3], 0.5
	v_fma_f64 v[60:61], s[2:3], v[2:3], v[100:101]
	v_add_f64 v[54:55], -v[50:51], 1.0
	v_fma_f64 v[60:61], v[2:3], v[60:61], s[4:5]
	v_add_f64 v[58:59], -v[54:55], 1.0
	v_fma_f64 v[60:61], v[2:3], v[60:61], s[6:7]
	v_add_f64 v[50:51], v[58:59], -v[50:51]
	v_fma_f64 v[60:61], v[2:3], v[60:61], s[8:9]
	v_mul_f64 v[58:59], v[2:3], v[2:3]
	v_fma_f64 v[60:61], v[2:3], v[60:61], s[10:11]
	v_fma_f64 v[50:51], v[48:49], -v[34:35], v[50:51]
	v_fmac_f64_e32 v[50:51], v[58:59], v[60:61]
	v_add_f64 v[50:51], v[54:55], v[50:51]
	v_fma_f64 v[54:55], s[12:13], v[2:3], v[102:103]
	v_fma_f64 v[54:55], v[2:3], v[54:55], s[14:15]
	;; [unrolled: 1-line block ×4, first 2 shown]
	v_mul_f64 v[58:59], v[48:49], -v[2:3]
	v_mul_f64 v[60:61], v[34:35], 0.5
	v_fmac_f64_e32 v[60:61], v[58:59], v[54:55]
	v_fma_f64 v[2:3], v[2:3], v[60:61], -v[34:35]
	scratch_load_dword v34, off, off offset:76 ; 4-byte Folded Reload
	v_cmp_eq_u32_e64 s[0:1], 0, v40
	scratch_load_dwordx2 v[40:41], off, off offset:92 ; 8-byte Folded Reload
	v_fmac_f64_e32 v[2:3], s[20:21], v[58:59]
	v_add_f64 v[2:3], v[48:49], -v[2:3]
	v_lshlrev_b32_e32 v1, 30, v1
	v_cndmask_b32_e64 v3, v51, v3, s[0:1]
	v_xor_b32_e32 v1, v1, v57
	v_cndmask_b32_e64 v2, v50, v2, s[0:1]
	v_bitop3_b32 v1, v3, v1, s22 bitop3:0x78
	v_cndmask_b32_e32 v50, 0, v2, vcc
	v_cndmask_b32_e32 v51, v44, v1, vcc
	v_mul_f64 v[2:3], v[28:29], v[50:51]
	v_mul_f64 v[4:5], v[38:39], v[38:39]
	v_fma_f64 v[2:3], v[16:17], v[32:33], -v[2:3]
	v_mul_f64 v[16:17], v[16:17], v[50:51]
	v_mul_f64 v[18:19], v[4:5], 0.5
	v_fma_f64 v[50:51], s[2:3], v[4:5], v[100:101]
	v_fmac_f64_e32 v[16:17], v[28:29], v[32:33]
	v_add_f64 v[28:29], -v[18:19], 1.0
	v_fma_f64 v[50:51], v[4:5], v[50:51], s[4:5]
	v_fma_f64 v[50:51], v[4:5], v[50:51], s[6:7]
	v_add_f64 v[54:55], -v[28:29], 1.0
	v_fma_f64 v[50:51], v[4:5], v[50:51], s[8:9]
	v_add_f64 v[18:19], v[54:55], -v[18:19]
	v_mul_f64 v[32:33], v[4:5], v[4:5]
	v_fma_f64 v[50:51], v[4:5], v[50:51], s[10:11]
	s_waitcnt vmcnt(1)
	v_and_b32_e32 v1, 1, v34
	v_cmp_eq_u32_e32 vcc, 0, v1
	s_waitcnt vmcnt(0)
	v_fma_f64 v[18:19], v[38:39], -v[40:41], v[18:19]
	v_fmac_f64_e32 v[18:19], v[32:33], v[50:51]
	v_fma_f64 v[32:33], s[12:13], v[4:5], v[102:103]
	v_fma_f64 v[32:33], v[4:5], v[32:33], s[14:15]
	;; [unrolled: 1-line block ×3, first 2 shown]
	v_add_f64 v[18:19], v[28:29], v[18:19]
	v_mul_f64 v[28:29], v[38:39], -v[4:5]
	v_fma_f64 v[32:33], v[4:5], v[32:33], s[18:19]
	v_mul_f64 v[50:51], v[40:41], 0.5
	v_fmac_f64_e32 v[50:51], v[28:29], v[32:33]
	v_fma_f64 v[4:5], v[4:5], v[50:51], -v[40:41]
	v_fmac_f64_e32 v[4:5], s[20:21], v[28:29]
	v_add_f64 v[4:5], v[38:39], -v[4:5]
	v_xor_b32_e32 v5, 0x80000000, v5
	v_cndmask_b32_e32 v1, v4, v18, vcc
	v_cndmask_b32_e32 v4, v5, v19, vcc
	v_lshlrev_b32_e32 v5, 30, v34
	scratch_load_dwordx2 v[34:35], off, off offset:112 ; 8-byte Folded Reload
	scratch_load_dwordx2 v[38:39], off, off offset:120 ; 8-byte Folded Reload
	v_bitop3_b32 v4, v4, v5, s22 bitop3:0x78
	v_cmp_class_f64_e64 vcc, v[46:47], s23
	scratch_load_dword v40, off, off offset:8 ; 4-byte Folded Reload
	s_nop 0
	v_cndmask_b32_e32 v29, v44, v4, vcc
	v_cndmask_b32_e32 v28, 0, v1, vcc
	s_waitcnt vmcnt(2)
	v_mul_f64 v[4:5], v[34:35], v[34:35]
	v_mul_f64 v[18:19], v[4:5], 0.5
	v_fma_f64 v[50:51], s[2:3], v[4:5], v[100:101]
	v_add_f64 v[32:33], -v[18:19], 1.0
	v_fma_f64 v[50:51], v[4:5], v[50:51], s[4:5]
	v_add_f64 v[48:49], -v[32:33], 1.0
	v_fma_f64 v[50:51], v[4:5], v[50:51], s[6:7]
	v_add_f64 v[18:19], v[48:49], -v[18:19]
	v_fma_f64 v[50:51], v[4:5], v[50:51], s[8:9]
	v_mul_f64 v[48:49], v[4:5], v[4:5]
	v_fma_f64 v[50:51], v[4:5], v[50:51], s[10:11]
	s_waitcnt vmcnt(1)
	v_fma_f64 v[18:19], v[34:35], -v[38:39], v[18:19]
	v_fmac_f64_e32 v[18:19], v[48:49], v[50:51]
	v_add_f64 v[18:19], v[32:33], v[18:19]
	v_fma_f64 v[32:33], s[12:13], v[4:5], v[102:103]
	v_fma_f64 v[32:33], v[4:5], v[32:33], s[14:15]
	;; [unrolled: 1-line block ×4, first 2 shown]
	v_mul_f64 v[48:49], v[34:35], -v[4:5]
	v_mul_f64 v[50:51], v[38:39], 0.5
	v_fmac_f64_e32 v[50:51], v[48:49], v[32:33]
	scratch_load_dword v32, off, off offset:108 ; 4-byte Folded Reload
	v_fma_f64 v[4:5], v[4:5], v[50:51], -v[38:39]
	v_fmac_f64_e32 v[4:5], s[20:21], v[48:49]
	v_add_f64 v[4:5], v[34:35], -v[4:5]
	scratch_load_dwordx2 v[34:35], off, off offset:20 ; 8-byte Folded Reload
	scratch_load_dwordx2 v[38:39], off, off offset:60 ; 8-byte Folded Reload
	s_waitcnt vmcnt(2)
	v_and_b32_e32 v1, 1, v32
	v_cmp_eq_u32_e64 s[0:1], 0, v1
	s_waitcnt vmcnt(1)
	v_mul_f64 v[22:23], v[34:35], v[34:35]
	v_cndmask_b32_e64 v1, v18, v4, s[0:1]
	v_cndmask_b32_e64 v4, v19, v5, s[0:1]
	v_lshlrev_b32_e32 v5, 30, v32
	v_xor_b32_e32 v5, v5, v47
	v_bitop3_b32 v4, v4, v5, s22 bitop3:0x78
	v_cndmask_b32_e32 v18, 0, v1, vcc
	v_cndmask_b32_e32 v19, v44, v4, vcc
	v_mul_f64 v[4:5], v[26:27], v[18:19]
	v_fma_f64 v[4:5], v[24:25], v[28:29], -v[4:5]
	v_mul_f64 v[18:19], v[24:25], v[18:19]
	v_mul_f64 v[24:25], v[22:23], 0.5
	v_fmac_f64_e32 v[18:19], v[26:27], v[28:29]
	v_add_f64 v[26:27], -v[24:25], 1.0
	v_add_f64 v[32:33], -v[26:27], 1.0
	v_add_f64 v[24:25], v[32:33], -v[24:25]
	scratch_load_dwordx2 v[32:33], off, off offset:12 ; 8-byte Folded Reload
	v_fma_f64 v[30:31], s[2:3], v[22:23], v[100:101]
	v_fma_f64 v[30:31], v[22:23], v[30:31], s[4:5]
	;; [unrolled: 1-line block ×4, first 2 shown]
	v_mul_f64 v[28:29], v[22:23], v[22:23]
	v_fma_f64 v[30:31], v[22:23], v[30:31], s[10:11]
	v_and_b32_e32 v1, 1, v40
	v_cmp_eq_u32_e32 vcc, 0, v1
	s_waitcnt vmcnt(0)
	v_fma_f64 v[24:25], v[34:35], -v[32:33], v[24:25]
	v_fmac_f64_e32 v[24:25], v[28:29], v[30:31]
	v_fma_f64 v[28:29], s[12:13], v[22:23], v[102:103]
	v_fma_f64 v[28:29], v[22:23], v[28:29], s[14:15]
	;; [unrolled: 1-line block ×3, first 2 shown]
	v_add_f64 v[24:25], v[26:27], v[24:25]
	v_mul_f64 v[26:27], v[34:35], -v[22:23]
	v_fma_f64 v[28:29], v[22:23], v[28:29], s[18:19]
	v_mul_f64 v[30:31], v[32:33], 0.5
	v_fmac_f64_e32 v[30:31], v[26:27], v[28:29]
	v_fma_f64 v[22:23], v[22:23], v[30:31], -v[32:33]
	v_fmac_f64_e32 v[22:23], s[20:21], v[26:27]
	v_add_f64 v[22:23], v[34:35], -v[22:23]
	scratch_load_dwordx2 v[34:35], off, off offset:52 ; 8-byte Folded Reload
	v_xor_b32_e32 v23, 0x80000000, v23
	v_cndmask_b32_e32 v1, v22, v24, vcc
	v_cndmask_b32_e32 v22, v23, v25, vcc
	v_lshlrev_b32_e32 v23, 30, v40
	v_cmp_class_f64_e64 vcc, v[36:37], s23
	v_bitop3_b32 v23, v22, v23, s22 bitop3:0x78
	v_lshrrev_b32_e32 v36, 3, v0
	v_cndmask_b32_e32 v22, 0, v1, vcc
	v_cndmask_b32_e32 v23, v44, v23, vcc
	v_cvt_f64_u32_e32 v[66:67], v36
	s_waitcnt vmcnt(0)
	v_mul_f64 v[24:25], v[34:35], v[34:35]
	v_mul_f64 v[26:27], v[24:25], 0.5
	v_fma_f64 v[32:33], s[2:3], v[24:25], v[100:101]
	v_add_f64 v[28:29], -v[26:27], 1.0
	v_fma_f64 v[32:33], v[24:25], v[32:33], s[4:5]
	v_add_f64 v[30:31], -v[28:29], 1.0
	v_fma_f64 v[32:33], v[24:25], v[32:33], s[6:7]
	v_add_f64 v[26:27], v[30:31], -v[26:27]
	v_fma_f64 v[32:33], v[24:25], v[32:33], s[8:9]
	v_mul_f64 v[30:31], v[24:25], v[24:25]
	v_fma_f64 v[32:33], v[24:25], v[32:33], s[10:11]
	v_fma_f64 v[26:27], v[34:35], -v[38:39], v[26:27]
	v_fmac_f64_e32 v[26:27], v[30:31], v[32:33]
	v_add_f64 v[26:27], v[28:29], v[26:27]
	v_fma_f64 v[28:29], s[12:13], v[24:25], v[102:103]
	v_fma_f64 v[28:29], v[24:25], v[28:29], s[14:15]
	;; [unrolled: 1-line block ×4, first 2 shown]
	v_mul_f64 v[30:31], v[34:35], -v[24:25]
	v_mul_f64 v[32:33], v[38:39], 0.5
	v_fmac_f64_e32 v[32:33], v[30:31], v[28:29]
	scratch_load_dword v28, off, off offset:44 ; 4-byte Folded Reload
	v_fma_f64 v[24:25], v[24:25], v[32:33], -v[38:39]
	v_fmac_f64_e32 v[24:25], s[20:21], v[30:31]
	v_add_f64 v[24:25], v[34:35], -v[24:25]
	ds_write2_b64 v121, v[6:7], v[70:71] offset1:66
	ds_write2_b64 v121, v[4:5], v[98:99] offset0:132 offset1:198
	s_waitcnt vmcnt(0)
	v_and_b32_e32 v1, 1, v28
	v_cmp_eq_u32_e64 s[0:1], 0, v1
	s_nop 1
	v_cndmask_b32_e64 v1, v26, v24, s[0:1]
	v_cndmask_b32_e64 v24, v27, v25, s[0:1]
	v_lshlrev_b32_e32 v25, 30, v28
	v_xor_b32_e32 v25, v25, v37
	v_bitop3_b32 v25, v24, v25, s22 bitop3:0x78
	v_cndmask_b32_e32 v24, 0, v1, vcc
	v_cndmask_b32_e32 v25, v44, v25, vcc
	v_mul_f64 v[26:27], v[20:21], v[24:25]
	v_mul_f64 v[24:25], v[14:15], v[24:25]
	v_fmac_f64_e32 v[24:25], v[20:21], v[22:23]
	v_add_f64 v[20:21], v[8:9], v[12:13]
	v_mul_f64 v[12:13], v[88:89], v[88:89]
	v_fma_f64 v[26:27], v[14:15], v[22:23], -v[26:27]
	v_mul_f64 v[14:15], v[12:13], 0.5
	v_fma_f64 v[30:31], s[2:3], v[12:13], v[100:101]
	v_add_f64 v[22:23], -v[14:15], 1.0
	v_fma_f64 v[30:31], v[12:13], v[30:31], s[4:5]
	v_fma_f64 v[30:31], v[12:13], v[30:31], s[6:7]
	v_add_f64 v[32:33], -v[22:23], 1.0
	v_fma_f64 v[30:31], v[12:13], v[30:31], s[8:9]
	v_add_f64 v[14:15], v[32:33], -v[14:15]
	v_mul_f64 v[28:29], v[12:13], v[12:13]
	v_fma_f64 v[30:31], v[12:13], v[30:31], s[10:11]
	v_fma_f64 v[14:15], v[88:89], -v[90:91], v[14:15]
	v_fmac_f64_e32 v[14:15], v[28:29], v[30:31]
	v_fma_f64 v[28:29], s[12:13], v[12:13], v[102:103]
	v_fma_f64 v[28:29], v[12:13], v[28:29], s[14:15]
	;; [unrolled: 1-line block ×3, first 2 shown]
	v_add_f64 v[14:15], v[22:23], v[14:15]
	v_mul_f64 v[22:23], v[88:89], -v[12:13]
	v_fma_f64 v[28:29], v[12:13], v[28:29], s[18:19]
	v_mul_f64 v[30:31], v[90:91], 0.5
	v_fmac_f64_e32 v[30:31], v[22:23], v[28:29]
	v_fma_f64 v[12:13], v[12:13], v[30:31], -v[90:91]
	v_fmac_f64_e32 v[12:13], s[20:21], v[22:23]
	v_and_b32_e32 v1, 1, v52
	v_add_f64 v[12:13], v[88:89], -v[12:13]
	v_xor_b32_e32 v13, 0x80000000, v13
	v_cmp_eq_u32_e32 vcc, 0, v1
	v_add_f64 v[8:9], v[108:109], -v[104:105]
	s_nop 0
	v_cndmask_b32_e32 v1, v12, v14, vcc
	v_cndmask_b32_e32 v12, v13, v15, vcc
	v_mul_f64 v[14:15], v[94:95], v[94:95]
	v_mul_f64 v[22:23], v[14:15], 0.5
	v_fmac_f64_e32 v[100:101], s[2:3], v[14:15]
	v_add_f64 v[28:29], -v[22:23], 1.0
	v_fma_f64 v[32:33], v[14:15], v[100:101], s[4:5]
	v_add_f64 v[30:31], -v[28:29], 1.0
	v_fma_f64 v[32:33], v[14:15], v[32:33], s[6:7]
	v_add_f64 v[22:23], v[30:31], -v[22:23]
	v_fma_f64 v[32:33], v[14:15], v[32:33], s[8:9]
	v_mul_f64 v[30:31], v[14:15], v[14:15]
	v_fma_f64 v[32:33], v[14:15], v[32:33], s[10:11]
	v_fma_f64 v[22:23], v[94:95], -v[96:97], v[22:23]
	v_fmac_f64_e32 v[22:23], v[30:31], v[32:33]
	v_fmac_f64_e32 v[102:103], s[12:13], v[14:15]
	v_add_f64 v[22:23], v[28:29], v[22:23]
	v_fma_f64 v[28:29], v[14:15], v[102:103], s[14:15]
	v_fma_f64 v[28:29], v[14:15], v[28:29], s[16:17]
	;; [unrolled: 1-line block ×3, first 2 shown]
	v_mul_f64 v[30:31], v[94:95], -v[14:15]
	v_mul_f64 v[32:33], v[96:97], 0.5
	v_fmac_f64_e32 v[32:33], v[30:31], v[28:29]
	v_lshlrev_b32_e32 v13, 30, v52
	v_cmp_class_f64_e64 vcc, v[62:63], s23
	v_fma_f64 v[14:15], v[14:15], v[32:33], -v[96:97]
	v_bitop3_b32 v13, v12, v13, s22 bitop3:0x78
	v_cndmask_b32_e32 v12, 0, v1, vcc
	v_fmac_f64_e32 v[14:15], s[20:21], v[30:31]
	v_and_b32_e32 v1, 1, v53
	v_add_f64 v[14:15], v[94:95], -v[14:15]
	v_cmp_eq_u32_e64 s[0:1], 0, v1
	v_cndmask_b32_e32 v13, v44, v13, vcc
	s_mov_b32 s5, 0xbfd921fb
	v_cndmask_b32_e64 v1, v22, v14, s[0:1]
	v_cndmask_b32_e64 v14, v23, v15, s[0:1]
	v_lshlrev_b32_e32 v15, 30, v53
	v_xor_b32_e32 v15, v15, v63
	v_bitop3_b32 v15, v14, v15, s22 bitop3:0x78
	v_cndmask_b32_e32 v14, 0, v1, vcc
	v_cndmask_b32_e32 v15, v44, v15, vcc
	v_mul_f64 v[22:23], v[10:11], v[14:15]
	v_add_u32_e32 v1, 0x800, v121
	v_fma_f64 v[22:23], v[8:9], v[12:13], -v[22:23]
	ds_write2_b64 v1, v[26:27], v[80:81] offset0:8 offset1:74
	ds_write2_b64 v1, v[2:3], v[22:23] offset0:140 offset1:206
	v_and_b32_e32 v2, 7, v0
	v_and_b32_e32 v0, 0x3f8, v0
	s_movk_i32 s0, 0x210
	v_mad_u32_u24 v0, v2, s0, v0
	s_waitcnt lgkmcnt(0)
	s_barrier
	scratch_store_dword off, v2, off offset:12 ; 4-byte Folded Spill
	ds_read2_b64 v[2:5], v0 offset1:8
	v_mul_f64 v[28:29], v[8:9], v[14:15]
	v_fmac_f64_e32 v[28:29], v[10:11], v[12:13]
	s_mov_b32 s4, 0x54442d18
	s_mov_b32 s0, 0
	s_waitcnt lgkmcnt(0)
	scratch_store_dwordx4 off, v[2:5], off offset:92 ; 16-byte Folded Spill
	ds_read2_b64 v[2:5], v0 offset0:16 offset1:24
	ds_read2_b64 v[122:125], v0 offset0:32 offset1:40
	;; [unrolled: 1-line block ×3, first 2 shown]
	s_waitcnt lgkmcnt(0)
	s_barrier
	ds_write2_b64 v121, v[20:21], v[68:69] offset1:66
	ds_write2_b64 v121, v[18:19], v[92:93] offset0:132 offset1:198
	ds_write2_b64 v1, v[24:25], v[78:79] offset0:8 offset1:74
	ds_write2_b64 v1, v[16:17], v[28:29] offset0:140 offset1:206
	s_waitcnt lgkmcnt(0)
	s_barrier
	ds_read2_b64 v[24:27], v0 offset1:8
	ds_read2_b64 v[18:21], v0 offset0:16 offset1:24
	ds_read2_b64 v[28:31], v0 offset0:32 offset1:40
	;; [unrolled: 1-line block ×3, first 2 shown]
	v_mul_f64 v[32:33], v[66:67], s[4:5]
	s_mov_b32 s1, 0x41d00000
                                        ; implicit-def: $vgpr0
	v_cmp_nlt_f64_e64 s[2:3], |v[32:33]|, s[0:1]
	v_trig_preop_f64 v[48:49], |v[32:33]|, 0
	v_trig_preop_f64 v[46:47], |v[32:33]|, 1
	;; [unrolled: 1-line block ×3, first 2 shown]
                                        ; kill: killed $vgpr0
                                        ; implicit-def: $vgpr0_vgpr1
	s_waitcnt lgkmcnt(0)
	scratch_store_dwordx4 off, v[14:17], off offset:60 ; 16-byte Folded Spill
	s_barrier
	scratch_store_dword off, v36, off offset:8 ; 4-byte Folded Spill
                                        ; kill: killed $vgpr0_vgpr1
                                        ; implicit-def: $vgpr0_vgpr1
                                        ; kill: killed $vgpr0_vgpr1
	s_and_saveexec_b64 s[0:1], s[2:3]
	s_xor_b64 s[6:7], exec, s[0:1]
	s_cbranch_execz .LBB0_58
; %bb.57:
	s_mov_b32 s0, 0
	s_mov_b32 s1, 0x7b000000
	s_movk_i32 s5, 0xff80
	v_and_b32_e32 v0, 0x7fffffff, v33
	v_ldexp_f64 v[36:37], |v[32:33]|, s5
	v_cmp_ge_f64_e64 vcc, |v[32:33]|, s[0:1]
	s_mov_b32 s0, 0
	s_mov_b32 s1, 0x7ff00000
	v_cndmask_b32_e32 v37, v0, v37, vcc
	v_cndmask_b32_e32 v36, v32, v36, vcc
	v_mul_f64 v[40:41], v[48:49], v[36:37]
	v_mul_f64 v[38:39], v[46:47], v[36:37]
	v_fma_f64 v[42:43], v[48:49], v[36:37], -v[40:41]
	v_add_f64 v[50:51], v[38:39], v[42:43]
	v_add_f64 v[58:59], v[50:51], -v[38:39]
	v_add_f64 v[42:43], v[42:43], -v[58:59]
	;; [unrolled: 1-line block ×4, first 2 shown]
	v_add_f64 v[42:43], v[42:43], v[58:59]
	v_fma_f64 v[38:39], v[46:47], v[36:37], -v[38:39]
	v_mul_f64 v[58:59], v[44:45], v[36:37]
	v_add_f64 v[60:61], v[58:59], v[38:39]
	v_add_f64 v[52:53], v[40:41], v[50:51]
	;; [unrolled: 1-line block ×3, first 2 shown]
	v_ldexp_f64 v[54:55], v[52:53], -2
	v_add_f64 v[40:41], v[52:53], -v[40:41]
	v_add_f64 v[52:53], v[62:63], -v[60:61]
	;; [unrolled: 1-line block ×5, first 2 shown]
	v_add_f64 v[42:43], v[42:43], v[52:53]
	v_add_f64 v[52:53], v[60:61], -v[58:59]
	v_add_f64 v[38:39], v[38:39], -v[52:53]
	;; [unrolled: 1-line block ×5, first 2 shown]
	v_add_f64 v[38:39], v[38:39], v[52:53]
	v_fract_f64_e32 v[56:57], v[54:55]
	v_add_f64 v[50:51], v[40:41], v[62:63]
	v_add_f64 v[38:39], v[38:39], v[42:43]
	v_fma_f64 v[36:37], v[44:45], v[36:37], -v[58:59]
	v_add_f64 v[40:41], v[50:51], -v[40:41]
	v_add_f64 v[36:37], v[36:37], v[38:39]
	v_ldexp_f64 v[38:39], v[56:57], 2
	v_cmp_neq_f64_e64 vcc, |v[54:55]|, s[0:1]
	v_add_f64 v[40:41], v[62:63], -v[40:41]
	v_add_f64 v[36:37], v[40:41], v[36:37]
	v_cndmask_b32_e32 v39, 0, v39, vcc
	v_cndmask_b32_e32 v38, 0, v38, vcc
	v_add_f64 v[40:41], v[50:51], v[38:39]
	v_mov_b32_e32 v0, 0x40100000
	v_cmp_gt_f64_e32 vcc, 0, v[40:41]
	v_mov_b32_e32 v40, 0
	s_mov_b32 s5, 0x3ff921fb
	v_cndmask_b32_e32 v41, 0, v0, vcc
	v_add_f64 v[38:39], v[38:39], v[40:41]
	v_add_f64 v[42:43], v[50:51], v[38:39]
	v_cvt_i32_f64_e32 v0, v[42:43]
	v_cvt_f64_i32_e32 v[42:43], v0
	v_add_f64 v[38:39], v[38:39], -v[42:43]
	v_add_f64 v[42:43], v[50:51], v[38:39]
	v_cmp_le_f64_e32 vcc, 0.5, v[42:43]
	v_add_f64 v[38:39], v[42:43], -v[38:39]
	v_add_f64 v[38:39], v[50:51], -v[38:39]
	v_addc_co_u32_e64 v0, s[0:1], 0, v0, vcc
	scratch_store_dword off, v0, off offset:20 ; 4-byte Folded Spill
	v_mov_b32_e32 v0, 0x3ff00000
	v_cndmask_b32_e32 v41, 0, v0, vcc
	v_add_f64 v[36:37], v[36:37], v[38:39]
	v_add_f64 v[38:39], v[42:43], -v[40:41]
	v_add_f64 v[40:41], v[38:39], v[36:37]
	v_add_f64 v[38:39], v[40:41], -v[38:39]
	v_add_f64 v[36:37], v[36:37], -v[38:39]
	v_mul_f64 v[38:39], v[40:41], s[4:5]
	s_mov_b32 s0, 0x33145c07
	v_fma_f64 v[42:43], v[40:41], s[4:5], -v[38:39]
	s_mov_b32 s1, 0x3c91a626
	v_fmac_f64_e32 v[42:43], s[0:1], v[40:41]
	v_fmac_f64_e32 v[42:43], s[4:5], v[36:37]
	v_add_f64 v[0:1], v[38:39], v[42:43]
	v_add_f64 v[38:39], v[0:1], -v[38:39]
	scratch_store_dwordx2 off, v[0:1], off offset:44 ; 8-byte Folded Spill
	v_add_f64 v[0:1], v[42:43], -v[38:39]
	scratch_store_dwordx2 off, v[0:1], off offset:28 ; 8-byte Folded Spill
	s_andn2_saveexec_b64 s[0:1], s[6:7]
	s_cbranch_execz .LBB0_60
	s_branch .LBB0_59
.LBB0_58:
	s_andn2_saveexec_b64 s[0:1], s[6:7]
	s_cbranch_execz .LBB0_60
.LBB0_59:
	s_mov_b32 s4, 0x6dc9c883
	s_mov_b32 s5, 0x3fe45f30
	v_mul_f64 v[36:37], |v[32:33]|, s[4:5]
	s_mov_b32 s4, 0x54442d18
	v_rndne_f64_e32 v[38:39], v[36:37]
	s_mov_b32 s5, 0xbff921fb
	v_fma_f64 v[36:37], v[38:39], s[4:5], |v[32:33]|
	s_mov_b32 s5, 0xbc91a626
	s_mov_b32 s4, 0x33145c00
	v_mul_f64 v[42:43], v[38:39], s[4:5]
	v_add_f64 v[52:53], v[36:37], v[42:43]
	v_fma_f64 v[40:41], s[4:5], v[38:39], v[36:37]
	s_mov_b32 s5, 0x3c91a626
	v_add_f64 v[36:37], v[36:37], -v[52:53]
	v_fma_f64 v[50:51], s[4:5], v[38:39], v[42:43]
	v_add_f64 v[36:37], v[36:37], v[42:43]
	v_add_f64 v[42:43], v[52:53], -v[40:41]
	v_add_f64 v[36:37], v[42:43], v[36:37]
	s_mov_b32 s4, 0x252049c0
	v_add_f64 v[42:43], v[36:37], -v[50:51]
	s_mov_b32 s5, 0xb97b839a
	v_fmac_f64_e32 v[42:43], s[4:5], v[38:39]
	v_add_f64 v[0:1], v[40:41], v[42:43]
	v_add_f64 v[40:41], v[0:1], -v[40:41]
	scratch_store_dwordx2 off, v[0:1], off offset:44 ; 8-byte Folded Spill
	v_add_f64 v[0:1], v[42:43], -v[40:41]
	scratch_store_dwordx2 off, v[0:1], off offset:28 ; 8-byte Folded Spill
	v_cvt_i32_f64_e32 v0, v[38:39]
	scratch_store_dword off, v0, off offset:20 ; 4-byte Folded Spill
.LBB0_60:
	s_or_b64 exec, exec, s[0:1]
                                        ; implicit-def: $vgpr0
                                        ; kill: killed $vgpr0
                                        ; implicit-def: $vgpr0_vgpr1
                                        ; kill: killed $vgpr0_vgpr1
                                        ; implicit-def: $vgpr0_vgpr1
                                        ; kill: killed $vgpr0_vgpr1
	s_and_saveexec_b64 s[0:1], s[2:3]
	s_xor_b64 s[2:3], exec, s[0:1]
	s_cbranch_execz .LBB0_62
; %bb.61:
	s_mov_b32 s0, 0
	s_mov_b32 s1, 0x7b000000
	s_movk_i32 s4, 0xff80
	v_and_b32_e32 v0, 0x7fffffff, v33
	v_ldexp_f64 v[38:39], |v[32:33]|, s4
	v_cmp_ge_f64_e64 vcc, |v[32:33]|, s[0:1]
	s_mov_b32 s0, 0
	s_mov_b32 s1, 0x7ff00000
	v_cndmask_b32_e32 v39, v0, v39, vcc
	v_cndmask_b32_e32 v38, v32, v38, vcc
	v_mul_f64 v[42:43], v[48:49], v[38:39]
	v_mul_f64 v[40:41], v[46:47], v[38:39]
	v_fma_f64 v[48:49], v[48:49], v[38:39], -v[42:43]
	v_add_f64 v[50:51], v[40:41], v[48:49]
	v_add_f64 v[58:59], v[50:51], -v[40:41]
	v_add_f64 v[48:49], v[48:49], -v[58:59]
	;; [unrolled: 1-line block ×4, first 2 shown]
	v_fma_f64 v[40:41], v[46:47], v[38:39], -v[40:41]
	v_mul_f64 v[46:47], v[44:45], v[38:39]
	v_add_f64 v[48:49], v[48:49], v[58:59]
	v_add_f64 v[58:59], v[46:47], v[40:41]
	;; [unrolled: 1-line block ×4, first 2 shown]
	v_ldexp_f64 v[54:55], v[52:53], -2
	v_add_f64 v[42:43], v[52:53], -v[42:43]
	v_add_f64 v[52:53], v[60:61], -v[58:59]
	;; [unrolled: 1-line block ×5, first 2 shown]
	v_add_f64 v[48:49], v[48:49], v[52:53]
	v_add_f64 v[52:53], v[58:59], -v[46:47]
	v_add_f64 v[40:41], v[40:41], -v[52:53]
	v_add_f64 v[52:53], v[58:59], -v[52:53]
	v_add_f64 v[52:53], v[46:47], -v[52:53]
	v_add_f64 v[42:43], v[50:51], -v[42:43]
	v_add_f64 v[40:41], v[40:41], v[52:53]
	v_fract_f64_e32 v[56:57], v[54:55]
	v_add_f64 v[50:51], v[42:43], v[60:61]
	v_add_f64 v[40:41], v[40:41], v[48:49]
	v_fma_f64 v[38:39], v[44:45], v[38:39], -v[46:47]
	v_add_f64 v[42:43], v[50:51], -v[42:43]
	v_add_f64 v[38:39], v[38:39], v[40:41]
	v_ldexp_f64 v[40:41], v[56:57], 2
	v_cmp_neq_f64_e64 vcc, |v[54:55]|, s[0:1]
	v_add_f64 v[42:43], v[60:61], -v[42:43]
	v_add_f64 v[38:39], v[42:43], v[38:39]
	v_cndmask_b32_e32 v41, 0, v41, vcc
	v_cndmask_b32_e32 v40, 0, v40, vcc
	v_add_f64 v[42:43], v[50:51], v[40:41]
	v_mov_b32_e32 v0, 0x40100000
	v_cmp_gt_f64_e32 vcc, 0, v[42:43]
	v_mov_b32_e32 v42, 0
	s_mov_b32 s4, 0x33145c07
	v_cndmask_b32_e32 v43, 0, v0, vcc
	v_add_f64 v[40:41], v[40:41], v[42:43]
	v_add_f64 v[44:45], v[50:51], v[40:41]
	v_cvt_i32_f64_e32 v0, v[44:45]
	v_cvt_f64_i32_e32 v[44:45], v0
	v_add_f64 v[40:41], v[40:41], -v[44:45]
	v_add_f64 v[44:45], v[50:51], v[40:41]
	v_cmp_le_f64_e32 vcc, 0.5, v[44:45]
	v_add_f64 v[40:41], v[44:45], -v[40:41]
	v_add_f64 v[40:41], v[50:51], -v[40:41]
	v_addc_co_u32_e64 v0, s[0:1], 0, v0, vcc
	scratch_store_dword off, v0, off offset:52 ; 4-byte Folded Spill
	v_mov_b32_e32 v0, 0x3ff00000
	v_cndmask_b32_e32 v43, 0, v0, vcc
	v_add_f64 v[38:39], v[38:39], v[40:41]
	v_add_f64 v[40:41], v[44:45], -v[42:43]
	s_mov_b32 s0, 0x54442d18
	v_add_f64 v[42:43], v[40:41], v[38:39]
	s_mov_b32 s1, 0x3ff921fb
	v_mul_f64 v[44:45], v[42:43], s[0:1]
	v_add_f64 v[40:41], v[42:43], -v[40:41]
	v_fma_f64 v[46:47], v[42:43], s[0:1], -v[44:45]
	s_mov_b32 s5, 0x3c91a626
	v_add_f64 v[38:39], v[38:39], -v[40:41]
	v_fmac_f64_e32 v[46:47], s[4:5], v[42:43]
	v_fmac_f64_e32 v[46:47], s[0:1], v[38:39]
	v_add_f64 v[0:1], v[44:45], v[46:47]
	v_add_f64 v[38:39], v[0:1], -v[44:45]
	scratch_store_dwordx2 off, v[0:1], off offset:76 ; 8-byte Folded Spill
	v_add_f64 v[0:1], v[46:47], -v[38:39]
	scratch_store_dwordx2 off, v[0:1], off offset:84 ; 8-byte Folded Spill
	s_andn2_saveexec_b64 s[0:1], s[2:3]
	s_cbranch_execnz .LBB0_63
	s_branch .LBB0_64
.LBB0_62:
	s_andn2_saveexec_b64 s[0:1], s[2:3]
	s_cbranch_execz .LBB0_64
.LBB0_63:
	s_mov_b32 s2, 0x6dc9c883
	s_mov_b32 s3, 0x3fe45f30
	v_mul_f64 v[38:39], |v[32:33]|, s[2:3]
	s_mov_b32 s2, 0x54442d18
	v_rndne_f64_e32 v[38:39], v[38:39]
	s_mov_b32 s3, 0xbff921fb
	v_fma_f64 v[40:41], v[38:39], s[2:3], |v[32:33]|
	s_mov_b32 s3, 0xbc91a626
	s_mov_b32 s2, 0x33145c00
	v_mul_f64 v[44:45], v[38:39], s[2:3]
	v_add_f64 v[48:49], v[40:41], v[44:45]
	v_fma_f64 v[42:43], s[2:3], v[38:39], v[40:41]
	s_mov_b32 s3, 0x3c91a626
	v_add_f64 v[40:41], v[40:41], -v[48:49]
	v_fma_f64 v[46:47], s[2:3], v[38:39], v[44:45]
	v_add_f64 v[40:41], v[40:41], v[44:45]
	v_add_f64 v[44:45], v[48:49], -v[42:43]
	v_add_f64 v[40:41], v[44:45], v[40:41]
	s_mov_b32 s2, 0x252049c0
	v_add_f64 v[44:45], v[40:41], -v[46:47]
	s_mov_b32 s3, 0xb97b839a
	v_fmac_f64_e32 v[44:45], s[2:3], v[38:39]
	v_add_f64 v[0:1], v[42:43], v[44:45]
	v_add_f64 v[42:43], v[0:1], -v[42:43]
	scratch_store_dwordx2 off, v[0:1], off offset:76 ; 8-byte Folded Spill
	v_add_f64 v[0:1], v[44:45], -v[42:43]
	scratch_store_dwordx2 off, v[0:1], off offset:84 ; 8-byte Folded Spill
	v_cvt_i32_f64_e32 v0, v[38:39]
	scratch_store_dword off, v0, off offset:52 ; 4-byte Folded Spill
.LBB0_64:
	s_or_b64 exec, exec, s[0:1]
	s_mov_b32 s5, 0xbfc921fb
	s_mov_b32 s4, 0x54442d18
	;; [unrolled: 1-line block ×3, first 2 shown]
	v_mul_f64 v[44:45], v[66:67], s[4:5]
	s_mov_b32 s1, 0x41d00000
                                        ; implicit-def: $vgpr0
	v_cmp_nlt_f64_e64 s[2:3], |v[44:45]|, s[0:1]
	v_trig_preop_f64 v[58:59], |v[44:45]|, 0
	v_trig_preop_f64 v[56:57], |v[44:45]|, 1
	;; [unrolled: 1-line block ×3, first 2 shown]
                                        ; kill: killed $vgpr0
                                        ; implicit-def: $vgpr0_vgpr1
                                        ; kill: killed $vgpr0_vgpr1
                                        ; implicit-def: $vgpr0_vgpr1
                                        ; kill: killed $vgpr0_vgpr1
	s_and_saveexec_b64 s[0:1], s[2:3]
	s_xor_b64 s[6:7], exec, s[0:1]
	s_cbranch_execz .LBB0_66
; %bb.65:
	s_mov_b32 s0, 0
	s_mov_b32 s1, 0x7b000000
	s_movk_i32 s5, 0xff80
	v_and_b32_e32 v0, 0x7fffffff, v45
	v_ldexp_f64 v[38:39], |v[44:45]|, s5
	v_cmp_ge_f64_e64 vcc, |v[44:45]|, s[0:1]
	s_mov_b32 s0, 0
	s_mov_b32 s1, 0x7ff00000
	v_cndmask_b32_e32 v39, v0, v39, vcc
	v_cndmask_b32_e32 v38, v44, v38, vcc
	v_mul_f64 v[48:49], v[58:59], v[38:39]
	v_mul_f64 v[46:47], v[56:57], v[38:39]
	v_fma_f64 v[50:51], v[58:59], v[38:39], -v[48:49]
	v_add_f64 v[52:53], v[46:47], v[50:51]
	v_add_f64 v[68:69], v[52:53], -v[46:47]
	v_add_f64 v[50:51], v[50:51], -v[68:69]
	;; [unrolled: 1-line block ×4, first 2 shown]
	v_add_f64 v[50:51], v[50:51], v[68:69]
	v_fma_f64 v[46:47], v[56:57], v[38:39], -v[46:47]
	v_mul_f64 v[68:69], v[54:55], v[38:39]
	v_add_f64 v[70:71], v[68:69], v[46:47]
	v_add_f64 v[60:61], v[48:49], v[52:53]
	;; [unrolled: 1-line block ×3, first 2 shown]
	v_ldexp_f64 v[62:63], v[60:61], -2
	v_add_f64 v[48:49], v[60:61], -v[48:49]
	v_add_f64 v[60:61], v[72:73], -v[70:71]
	;; [unrolled: 1-line block ×5, first 2 shown]
	v_add_f64 v[50:51], v[50:51], v[60:61]
	v_add_f64 v[60:61], v[70:71], -v[68:69]
	v_add_f64 v[46:47], v[46:47], -v[60:61]
	;; [unrolled: 1-line block ×5, first 2 shown]
	v_add_f64 v[46:47], v[46:47], v[60:61]
	v_fract_f64_e32 v[64:65], v[62:63]
	v_add_f64 v[52:53], v[48:49], v[72:73]
	v_add_f64 v[46:47], v[46:47], v[50:51]
	v_fma_f64 v[38:39], v[54:55], v[38:39], -v[68:69]
	v_add_f64 v[48:49], v[52:53], -v[48:49]
	v_add_f64 v[38:39], v[38:39], v[46:47]
	v_ldexp_f64 v[46:47], v[64:65], 2
	v_cmp_neq_f64_e64 vcc, |v[62:63]|, s[0:1]
	v_add_f64 v[48:49], v[72:73], -v[48:49]
	v_add_f64 v[38:39], v[48:49], v[38:39]
	v_cndmask_b32_e32 v47, 0, v47, vcc
	v_cndmask_b32_e32 v46, 0, v46, vcc
	v_add_f64 v[48:49], v[52:53], v[46:47]
	v_mov_b32_e32 v0, 0x40100000
	v_cmp_gt_f64_e32 vcc, 0, v[48:49]
	v_mov_b32_e32 v48, 0
	s_mov_b32 s5, 0x3ff921fb
	v_cndmask_b32_e32 v49, 0, v0, vcc
	v_add_f64 v[46:47], v[46:47], v[48:49]
	v_add_f64 v[50:51], v[52:53], v[46:47]
	v_cvt_i32_f64_e32 v0, v[50:51]
	v_cvt_f64_i32_e32 v[50:51], v0
	v_add_f64 v[46:47], v[46:47], -v[50:51]
	v_add_f64 v[50:51], v[52:53], v[46:47]
	v_cmp_le_f64_e32 vcc, 0.5, v[50:51]
	v_add_f64 v[46:47], v[50:51], -v[46:47]
	v_add_f64 v[46:47], v[52:53], -v[46:47]
	v_addc_co_u32_e64 v0, s[0:1], 0, v0, vcc
	scratch_store_dword off, v0, off offset:108 ; 4-byte Folded Spill
	v_mov_b32_e32 v0, 0x3ff00000
	v_cndmask_b32_e32 v49, 0, v0, vcc
	v_add_f64 v[38:39], v[38:39], v[46:47]
	v_add_f64 v[46:47], v[50:51], -v[48:49]
	v_add_f64 v[48:49], v[46:47], v[38:39]
	v_mul_f64 v[50:51], v[48:49], s[4:5]
	s_mov_b32 s0, 0x33145c07
	v_add_f64 v[46:47], v[48:49], -v[46:47]
	v_fma_f64 v[52:53], v[48:49], s[4:5], -v[50:51]
	s_mov_b32 s1, 0x3c91a626
	v_add_f64 v[38:39], v[38:39], -v[46:47]
	v_fmac_f64_e32 v[52:53], s[0:1], v[48:49]
	v_fmac_f64_e32 v[52:53], s[4:5], v[38:39]
	v_add_f64 v[0:1], v[50:51], v[52:53]
	v_add_f64 v[38:39], v[0:1], -v[50:51]
	scratch_store_dwordx2 off, v[0:1], off offset:112 ; 8-byte Folded Spill
	v_add_f64 v[0:1], v[52:53], -v[38:39]
	scratch_store_dwordx2 off, v[0:1], off offset:120 ; 8-byte Folded Spill
	s_andn2_saveexec_b64 s[0:1], s[6:7]
	s_cbranch_execz .LBB0_68
	s_branch .LBB0_67
.LBB0_66:
	s_andn2_saveexec_b64 s[0:1], s[6:7]
	s_cbranch_execz .LBB0_68
.LBB0_67:
	s_mov_b32 s4, 0x6dc9c883
	s_mov_b32 s5, 0x3fe45f30
	v_mul_f64 v[38:39], |v[44:45]|, s[4:5]
	s_mov_b32 s4, 0x54442d18
	v_rndne_f64_e32 v[38:39], v[38:39]
	s_mov_b32 s5, 0xbff921fb
	v_fma_f64 v[46:47], v[38:39], s[4:5], |v[44:45]|
	s_mov_b32 s5, 0xbc91a626
	s_mov_b32 s4, 0x33145c00
	v_mul_f64 v[50:51], v[38:39], s[4:5]
	v_add_f64 v[60:61], v[46:47], v[50:51]
	v_fma_f64 v[48:49], s[4:5], v[38:39], v[46:47]
	s_mov_b32 s5, 0x3c91a626
	v_add_f64 v[46:47], v[46:47], -v[60:61]
	v_fma_f64 v[52:53], s[4:5], v[38:39], v[50:51]
	v_add_f64 v[46:47], v[46:47], v[50:51]
	v_add_f64 v[50:51], v[60:61], -v[48:49]
	v_add_f64 v[46:47], v[50:51], v[46:47]
	s_mov_b32 s4, 0x252049c0
	v_add_f64 v[50:51], v[46:47], -v[52:53]
	s_mov_b32 s5, 0xb97b839a
	v_fmac_f64_e32 v[50:51], s[4:5], v[38:39]
	v_add_f64 v[0:1], v[48:49], v[50:51]
	v_add_f64 v[48:49], v[0:1], -v[48:49]
	scratch_store_dwordx2 off, v[0:1], off offset:112 ; 8-byte Folded Spill
	v_add_f64 v[0:1], v[50:51], -v[48:49]
	scratch_store_dwordx2 off, v[0:1], off offset:120 ; 8-byte Folded Spill
	v_cvt_i32_f64_e32 v0, v[38:39]
	scratch_store_dword off, v0, off offset:108 ; 4-byte Folded Spill
.LBB0_68:
	s_or_b64 exec, exec, s[0:1]
                                        ; implicit-def: $vgpr0
                                        ; kill: killed $vgpr0
                                        ; implicit-def: $vgpr50_vgpr51
                                        ; implicit-def: $vgpr0_vgpr1
                                        ; kill: killed $vgpr0_vgpr1
	s_and_saveexec_b64 s[0:1], s[2:3]
	s_xor_b64 s[2:3], exec, s[0:1]
	s_cbranch_execz .LBB0_70
; %bb.69:
	s_mov_b32 s0, 0
	s_mov_b32 s1, 0x7b000000
	s_movk_i32 s4, 0xff80
	v_and_b32_e32 v0, 0x7fffffff, v45
	v_ldexp_f64 v[38:39], |v[44:45]|, s4
	v_cmp_ge_f64_e64 vcc, |v[44:45]|, s[0:1]
	s_mov_b32 s0, 0
	s_mov_b32 s1, 0x7ff00000
	v_cndmask_b32_e32 v39, v0, v39, vcc
	v_cndmask_b32_e32 v38, v44, v38, vcc
	v_mul_f64 v[52:53], v[58:59], v[38:39]
	v_mul_f64 v[50:51], v[56:57], v[38:39]
	v_fma_f64 v[58:59], v[58:59], v[38:39], -v[52:53]
	v_add_f64 v[60:61], v[50:51], v[58:59]
	v_add_f64 v[70:71], v[60:61], -v[50:51]
	v_add_f64 v[58:59], v[58:59], -v[70:71]
	;; [unrolled: 1-line block ×4, first 2 shown]
	v_fma_f64 v[50:51], v[56:57], v[38:39], -v[50:51]
	v_mul_f64 v[56:57], v[54:55], v[38:39]
	v_add_f64 v[58:59], v[58:59], v[70:71]
	v_add_f64 v[70:71], v[56:57], v[50:51]
	;; [unrolled: 1-line block ×4, first 2 shown]
	v_ldexp_f64 v[64:65], v[62:63], -2
	v_add_f64 v[52:53], v[62:63], -v[52:53]
	v_add_f64 v[62:63], v[72:73], -v[70:71]
	;; [unrolled: 1-line block ×5, first 2 shown]
	v_add_f64 v[58:59], v[58:59], v[62:63]
	v_add_f64 v[62:63], v[70:71], -v[56:57]
	v_add_f64 v[50:51], v[50:51], -v[62:63]
	;; [unrolled: 1-line block ×5, first 2 shown]
	v_add_f64 v[50:51], v[50:51], v[62:63]
	v_fract_f64_e32 v[68:69], v[64:65]
	v_add_f64 v[60:61], v[52:53], v[72:73]
	v_add_f64 v[50:51], v[50:51], v[58:59]
	v_fma_f64 v[38:39], v[54:55], v[38:39], -v[56:57]
	v_add_f64 v[52:53], v[60:61], -v[52:53]
	v_add_f64 v[38:39], v[38:39], v[50:51]
	v_ldexp_f64 v[50:51], v[68:69], 2
	v_cmp_neq_f64_e64 vcc, |v[64:65]|, s[0:1]
	v_add_f64 v[52:53], v[72:73], -v[52:53]
	v_add_f64 v[38:39], v[52:53], v[38:39]
	v_cndmask_b32_e32 v51, 0, v51, vcc
	v_cndmask_b32_e32 v50, 0, v50, vcc
	v_add_f64 v[52:53], v[60:61], v[50:51]
	v_mov_b32_e32 v0, 0x40100000
	v_cmp_gt_f64_e32 vcc, 0, v[52:53]
	v_mov_b32_e32 v52, 0
	s_mov_b32 s4, 0x33145c07
	v_cndmask_b32_e32 v53, 0, v0, vcc
	v_add_f64 v[50:51], v[50:51], v[52:53]
	v_add_f64 v[54:55], v[60:61], v[50:51]
	v_cvt_i32_f64_e32 v0, v[54:55]
	v_cvt_f64_i32_e32 v[54:55], v0
	v_add_f64 v[50:51], v[50:51], -v[54:55]
	v_add_f64 v[54:55], v[60:61], v[50:51]
	v_cmp_le_f64_e32 vcc, 0.5, v[54:55]
	v_add_f64 v[50:51], v[54:55], -v[50:51]
	v_add_f64 v[50:51], v[60:61], -v[50:51]
	v_addc_co_u32_e64 v0, s[0:1], 0, v0, vcc
	scratch_store_dword off, v0, off offset:128 ; 4-byte Folded Spill
	v_mov_b32_e32 v0, 0x3ff00000
	v_cndmask_b32_e32 v53, 0, v0, vcc
	v_add_f64 v[38:39], v[38:39], v[50:51]
	v_add_f64 v[50:51], v[54:55], -v[52:53]
	s_mov_b32 s0, 0x54442d18
	v_add_f64 v[52:53], v[50:51], v[38:39]
	s_mov_b32 s1, 0x3ff921fb
	v_mul_f64 v[54:55], v[52:53], s[0:1]
	v_add_f64 v[50:51], v[52:53], -v[50:51]
	v_fma_f64 v[56:57], v[52:53], s[0:1], -v[54:55]
	s_mov_b32 s5, 0x3c91a626
	v_add_f64 v[38:39], v[38:39], -v[50:51]
	v_fmac_f64_e32 v[56:57], s[4:5], v[52:53]
	v_fmac_f64_e32 v[56:57], s[0:1], v[38:39]
	v_add_f64 v[50:51], v[54:55], v[56:57]
	v_add_f64 v[38:39], v[50:51], -v[54:55]
	v_add_f64 v[0:1], v[56:57], -v[38:39]
	scratch_store_dwordx2 off, v[0:1], off offset:132 ; 8-byte Folded Spill
	s_andn2_saveexec_b64 s[0:1], s[2:3]
	s_cbranch_execnz .LBB0_71
	s_branch .LBB0_72
.LBB0_70:
	s_andn2_saveexec_b64 s[0:1], s[2:3]
	s_cbranch_execz .LBB0_72
.LBB0_71:
	s_mov_b32 s2, 0x6dc9c883
	s_mov_b32 s3, 0x3fe45f30
	v_mul_f64 v[38:39], |v[44:45]|, s[2:3]
	s_mov_b32 s2, 0x54442d18
	v_rndne_f64_e32 v[38:39], v[38:39]
	s_mov_b32 s3, 0xbff921fb
	v_fma_f64 v[50:51], v[38:39], s[2:3], |v[44:45]|
	s_mov_b32 s3, 0xbc91a626
	s_mov_b32 s2, 0x33145c00
	v_mul_f64 v[54:55], v[38:39], s[2:3]
	v_add_f64 v[58:59], v[50:51], v[54:55]
	v_fma_f64 v[52:53], s[2:3], v[38:39], v[50:51]
	s_mov_b32 s3, 0x3c91a626
	v_add_f64 v[50:51], v[50:51], -v[58:59]
	v_fma_f64 v[56:57], s[2:3], v[38:39], v[54:55]
	v_add_f64 v[50:51], v[50:51], v[54:55]
	v_add_f64 v[54:55], v[58:59], -v[52:53]
	v_add_f64 v[50:51], v[54:55], v[50:51]
	s_mov_b32 s2, 0x252049c0
	v_add_f64 v[54:55], v[50:51], -v[56:57]
	s_mov_b32 s3, 0xb97b839a
	v_fmac_f64_e32 v[54:55], s[2:3], v[38:39]
	v_add_f64 v[50:51], v[52:53], v[54:55]
	v_add_f64 v[52:53], v[50:51], -v[52:53]
	v_add_f64 v[0:1], v[54:55], -v[52:53]
	scratch_store_dwordx2 off, v[0:1], off offset:132 ; 8-byte Folded Spill
	v_cvt_i32_f64_e32 v0, v[38:39]
	scratch_store_dword off, v0, off offset:128 ; 4-byte Folded Spill
.LBB0_72:
	s_or_b64 exec, exec, s[0:1]
	s_mov_b32 s0, 0x7f3321d2
	s_mov_b32 s1, 0xbfe2d97c
	v_mul_f64 v[54:55], v[66:67], s[0:1]
	s_mov_b32 s0, 0
	s_mov_b32 s1, 0x41d00000
	v_cmp_nlt_f64_e64 s[2:3], |v[54:55]|, s[0:1]
	v_trig_preop_f64 v[70:71], |v[54:55]|, 0
	v_trig_preop_f64 v[68:69], |v[54:55]|, 1
	;; [unrolled: 1-line block ×3, first 2 shown]
                                        ; implicit-def: $vgpr0
                                        ; kill: killed $vgpr0
                                        ; implicit-def: $vgpr40_vgpr41
                                        ; implicit-def: $vgpr0_vgpr1
                                        ; kill: killed $vgpr0_vgpr1
	s_and_saveexec_b64 s[0:1], s[2:3]
	s_xor_b64 s[4:5], exec, s[0:1]
	s_cbranch_execz .LBB0_74
; %bb.73:
	s_mov_b32 s0, 0
	s_mov_b32 s1, 0x7b000000
	s_movk_i32 s6, 0xff80
	v_and_b32_e32 v0, 0x7fffffff, v55
	v_ldexp_f64 v[38:39], |v[54:55]|, s6
	v_cmp_ge_f64_e64 vcc, |v[54:55]|, s[0:1]
	s_mov_b32 s0, 0
	s_mov_b32 s1, 0x7ff00000
	v_cndmask_b32_e32 v39, v0, v39, vcc
	v_cndmask_b32_e32 v38, v54, v38, vcc
	v_mul_f64 v[58:59], v[70:71], v[38:39]
	v_mul_f64 v[56:57], v[68:69], v[38:39]
	v_fma_f64 v[60:61], v[70:71], v[38:39], -v[58:59]
	v_add_f64 v[62:63], v[56:57], v[60:61]
	v_add_f64 v[78:79], v[62:63], -v[56:57]
	v_add_f64 v[60:61], v[60:61], -v[78:79]
	;; [unrolled: 1-line block ×4, first 2 shown]
	v_add_f64 v[60:61], v[60:61], v[78:79]
	v_fma_f64 v[56:57], v[68:69], v[38:39], -v[56:57]
	v_mul_f64 v[78:79], v[64:65], v[38:39]
	v_add_f64 v[80:81], v[78:79], v[56:57]
	v_add_f64 v[72:73], v[58:59], v[62:63]
	;; [unrolled: 1-line block ×3, first 2 shown]
	v_ldexp_f64 v[74:75], v[72:73], -2
	v_add_f64 v[58:59], v[72:73], -v[58:59]
	v_add_f64 v[72:73], v[82:83], -v[80:81]
	;; [unrolled: 1-line block ×5, first 2 shown]
	v_add_f64 v[60:61], v[60:61], v[72:73]
	v_add_f64 v[72:73], v[80:81], -v[78:79]
	v_add_f64 v[56:57], v[56:57], -v[72:73]
	;; [unrolled: 1-line block ×5, first 2 shown]
	v_add_f64 v[56:57], v[56:57], v[72:73]
	v_fract_f64_e32 v[76:77], v[74:75]
	v_add_f64 v[62:63], v[58:59], v[82:83]
	v_add_f64 v[56:57], v[56:57], v[60:61]
	v_fma_f64 v[38:39], v[64:65], v[38:39], -v[78:79]
	v_add_f64 v[58:59], v[62:63], -v[58:59]
	v_add_f64 v[38:39], v[38:39], v[56:57]
	v_ldexp_f64 v[56:57], v[76:77], 2
	v_cmp_neq_f64_e64 vcc, |v[74:75]|, s[0:1]
	v_add_f64 v[58:59], v[82:83], -v[58:59]
	v_add_f64 v[38:39], v[58:59], v[38:39]
	v_cndmask_b32_e32 v57, 0, v57, vcc
	v_cndmask_b32_e32 v56, 0, v56, vcc
	v_add_f64 v[58:59], v[62:63], v[56:57]
	v_mov_b32_e32 v0, 0x40100000
	v_cmp_gt_f64_e32 vcc, 0, v[58:59]
	v_mov_b32_e32 v58, 0
	s_mov_b32 s6, 0x33145c07
	v_cndmask_b32_e32 v59, 0, v0, vcc
	v_add_f64 v[56:57], v[56:57], v[58:59]
	v_add_f64 v[60:61], v[62:63], v[56:57]
	v_cvt_i32_f64_e32 v0, v[60:61]
	v_cvt_f64_i32_e32 v[60:61], v0
	v_add_f64 v[56:57], v[56:57], -v[60:61]
	v_add_f64 v[60:61], v[62:63], v[56:57]
	v_cmp_le_f64_e32 vcc, 0.5, v[60:61]
	v_add_f64 v[56:57], v[60:61], -v[56:57]
	v_add_f64 v[56:57], v[62:63], -v[56:57]
	v_addc_co_u32_e64 v0, s[0:1], 0, v0, vcc
	scratch_store_dword off, v0, off offset:140 ; 4-byte Folded Spill
	v_mov_b32_e32 v0, 0x3ff00000
	v_cndmask_b32_e32 v59, 0, v0, vcc
	v_add_f64 v[38:39], v[38:39], v[56:57]
	v_add_f64 v[56:57], v[60:61], -v[58:59]
	s_mov_b32 s0, 0x54442d18
	v_add_f64 v[58:59], v[56:57], v[38:39]
	s_mov_b32 s1, 0x3ff921fb
	v_mul_f64 v[60:61], v[58:59], s[0:1]
	v_add_f64 v[56:57], v[58:59], -v[56:57]
	v_fma_f64 v[62:63], v[58:59], s[0:1], -v[60:61]
	s_mov_b32 s7, 0x3c91a626
	v_add_f64 v[38:39], v[38:39], -v[56:57]
	v_fmac_f64_e32 v[62:63], s[6:7], v[58:59]
	v_fmac_f64_e32 v[62:63], s[0:1], v[38:39]
	v_add_f64 v[40:41], v[60:61], v[62:63]
	v_add_f64 v[38:39], v[40:41], -v[60:61]
	v_add_f64 v[0:1], v[62:63], -v[38:39]
	scratch_store_dwordx2 off, v[0:1], off offset:148 ; 8-byte Folded Spill
	s_andn2_saveexec_b64 s[0:1], s[4:5]
	s_cbranch_execz .LBB0_76
	s_branch .LBB0_75
.LBB0_74:
	s_andn2_saveexec_b64 s[0:1], s[4:5]
	s_cbranch_execz .LBB0_76
.LBB0_75:
	s_mov_b32 s4, 0x6dc9c883
	s_mov_b32 s5, 0x3fe45f30
	v_mul_f64 v[38:39], |v[54:55]|, s[4:5]
	s_mov_b32 s4, 0x54442d18
	v_rndne_f64_e32 v[38:39], v[38:39]
	s_mov_b32 s5, 0xbff921fb
	v_fma_f64 v[56:57], v[38:39], s[4:5], |v[54:55]|
	s_mov_b32 s5, 0xbc91a626
	s_mov_b32 s4, 0x33145c00
	v_mul_f64 v[60:61], v[38:39], s[4:5]
	v_add_f64 v[72:73], v[56:57], v[60:61]
	v_fma_f64 v[58:59], s[4:5], v[38:39], v[56:57]
	s_mov_b32 s5, 0x3c91a626
	v_add_f64 v[56:57], v[56:57], -v[72:73]
	v_fma_f64 v[62:63], s[4:5], v[38:39], v[60:61]
	v_add_f64 v[56:57], v[56:57], v[60:61]
	v_add_f64 v[60:61], v[72:73], -v[58:59]
	v_add_f64 v[56:57], v[60:61], v[56:57]
	s_mov_b32 s4, 0x252049c0
	v_add_f64 v[60:61], v[56:57], -v[62:63]
	s_mov_b32 s5, 0xb97b839a
	v_fmac_f64_e32 v[60:61], s[4:5], v[38:39]
	v_add_f64 v[40:41], v[58:59], v[60:61]
	v_add_f64 v[58:59], v[40:41], -v[58:59]
	v_add_f64 v[0:1], v[60:61], -v[58:59]
	scratch_store_dwordx2 off, v[0:1], off offset:148 ; 8-byte Folded Spill
	v_cvt_i32_f64_e32 v0, v[38:39]
	scratch_store_dword off, v0, off offset:140 ; 4-byte Folded Spill
.LBB0_76:
	s_or_b64 exec, exec, s[0:1]
                                        ; implicit-def: $vgpr0
                                        ; kill: killed $vgpr0
                                        ; implicit-def: $vgpr46_vgpr47
                                        ; implicit-def: $vgpr0_vgpr1
                                        ; kill: killed $vgpr0_vgpr1
	s_and_saveexec_b64 s[0:1], s[2:3]
	s_xor_b64 s[2:3], exec, s[0:1]
	s_cbranch_execz .LBB0_78
; %bb.77:
	s_mov_b32 s0, 0
	s_mov_b32 s1, 0x7b000000
	s_movk_i32 s4, 0xff80
	v_and_b32_e32 v0, 0x7fffffff, v55
	v_ldexp_f64 v[38:39], |v[54:55]|, s4
	v_cmp_ge_f64_e64 vcc, |v[54:55]|, s[0:1]
	s_mov_b32 s0, 0
	s_mov_b32 s1, 0x7ff00000
	v_cndmask_b32_e32 v39, v0, v39, vcc
	v_cndmask_b32_e32 v38, v54, v38, vcc
	v_mul_f64 v[62:63], v[70:71], v[38:39]
	v_mul_f64 v[60:61], v[68:69], v[38:39]
	v_fma_f64 v[70:71], v[70:71], v[38:39], -v[62:63]
	v_add_f64 v[72:73], v[60:61], v[70:71]
	v_add_f64 v[80:81], v[72:73], -v[60:61]
	v_add_f64 v[70:71], v[70:71], -v[80:81]
	;; [unrolled: 1-line block ×4, first 2 shown]
	v_fma_f64 v[60:61], v[68:69], v[38:39], -v[60:61]
	v_mul_f64 v[68:69], v[64:65], v[38:39]
	v_add_f64 v[70:71], v[70:71], v[80:81]
	v_add_f64 v[80:81], v[68:69], v[60:61]
	;; [unrolled: 1-line block ×4, first 2 shown]
	v_ldexp_f64 v[76:77], v[74:75], -2
	v_add_f64 v[62:63], v[74:75], -v[62:63]
	v_add_f64 v[74:75], v[82:83], -v[80:81]
	;; [unrolled: 1-line block ×5, first 2 shown]
	v_add_f64 v[70:71], v[70:71], v[74:75]
	v_add_f64 v[74:75], v[80:81], -v[68:69]
	v_add_f64 v[60:61], v[60:61], -v[74:75]
	;; [unrolled: 1-line block ×5, first 2 shown]
	v_add_f64 v[60:61], v[60:61], v[74:75]
	v_fract_f64_e32 v[78:79], v[76:77]
	v_add_f64 v[72:73], v[62:63], v[82:83]
	v_add_f64 v[60:61], v[60:61], v[70:71]
	v_fma_f64 v[38:39], v[64:65], v[38:39], -v[68:69]
	v_add_f64 v[62:63], v[72:73], -v[62:63]
	v_add_f64 v[38:39], v[38:39], v[60:61]
	v_ldexp_f64 v[60:61], v[78:79], 2
	v_cmp_neq_f64_e64 vcc, |v[76:77]|, s[0:1]
	v_add_f64 v[62:63], v[82:83], -v[62:63]
	v_add_f64 v[38:39], v[62:63], v[38:39]
	v_cndmask_b32_e32 v61, 0, v61, vcc
	v_cndmask_b32_e32 v60, 0, v60, vcc
	v_add_f64 v[62:63], v[72:73], v[60:61]
	v_mov_b32_e32 v0, 0x40100000
	v_cmp_gt_f64_e32 vcc, 0, v[62:63]
	v_mov_b32_e32 v62, 0
	s_mov_b32 s4, 0x33145c07
	v_cndmask_b32_e32 v63, 0, v0, vcc
	v_add_f64 v[60:61], v[60:61], v[62:63]
	v_add_f64 v[64:65], v[72:73], v[60:61]
	v_cvt_i32_f64_e32 v0, v[64:65]
	v_cvt_f64_i32_e32 v[64:65], v0
	v_add_f64 v[60:61], v[60:61], -v[64:65]
	v_add_f64 v[64:65], v[72:73], v[60:61]
	v_cmp_le_f64_e32 vcc, 0.5, v[64:65]
	v_add_f64 v[60:61], v[64:65], -v[60:61]
	v_add_f64 v[60:61], v[72:73], -v[60:61]
	v_addc_co_u32_e64 v0, s[0:1], 0, v0, vcc
	scratch_store_dword off, v0, off offset:156 ; 4-byte Folded Spill
	v_mov_b32_e32 v0, 0x3ff00000
	v_cndmask_b32_e32 v63, 0, v0, vcc
	v_add_f64 v[38:39], v[38:39], v[60:61]
	v_add_f64 v[60:61], v[64:65], -v[62:63]
	s_mov_b32 s0, 0x54442d18
	v_add_f64 v[62:63], v[60:61], v[38:39]
	s_mov_b32 s1, 0x3ff921fb
	v_mul_f64 v[64:65], v[62:63], s[0:1]
	v_add_f64 v[60:61], v[62:63], -v[60:61]
	v_fma_f64 v[68:69], v[62:63], s[0:1], -v[64:65]
	s_mov_b32 s5, 0x3c91a626
	v_add_f64 v[38:39], v[38:39], -v[60:61]
	v_fmac_f64_e32 v[68:69], s[4:5], v[62:63]
	v_fmac_f64_e32 v[68:69], s[0:1], v[38:39]
	v_add_f64 v[46:47], v[64:65], v[68:69]
	v_add_f64 v[38:39], v[46:47], -v[64:65]
	v_add_f64 v[0:1], v[68:69], -v[38:39]
	scratch_store_dwordx2 off, v[0:1], off offset:164 ; 8-byte Folded Spill
	s_andn2_saveexec_b64 s[0:1], s[2:3]
	s_cbranch_execnz .LBB0_79
	s_branch .LBB0_80
.LBB0_78:
	s_andn2_saveexec_b64 s[0:1], s[2:3]
	s_cbranch_execz .LBB0_80
.LBB0_79:
	s_mov_b32 s2, 0x6dc9c883
	s_mov_b32 s3, 0x3fe45f30
	v_mul_f64 v[38:39], |v[54:55]|, s[2:3]
	s_mov_b32 s2, 0x54442d18
	v_rndne_f64_e32 v[38:39], v[38:39]
	s_mov_b32 s3, 0xbff921fb
	v_fma_f64 v[60:61], v[38:39], s[2:3], |v[54:55]|
	s_mov_b32 s3, 0xbc91a626
	s_mov_b32 s2, 0x33145c00
	v_mul_f64 v[64:65], v[38:39], s[2:3]
	v_add_f64 v[70:71], v[60:61], v[64:65]
	v_fma_f64 v[62:63], s[2:3], v[38:39], v[60:61]
	s_mov_b32 s3, 0x3c91a626
	v_add_f64 v[60:61], v[60:61], -v[70:71]
	v_fma_f64 v[68:69], s[2:3], v[38:39], v[64:65]
	v_add_f64 v[60:61], v[60:61], v[64:65]
	v_add_f64 v[64:65], v[70:71], -v[62:63]
	v_add_f64 v[60:61], v[64:65], v[60:61]
	s_mov_b32 s2, 0x252049c0
	v_add_f64 v[64:65], v[60:61], -v[68:69]
	s_mov_b32 s3, 0xb97b839a
	v_fmac_f64_e32 v[64:65], s[2:3], v[38:39]
	v_add_f64 v[46:47], v[62:63], v[64:65]
	v_add_f64 v[62:63], v[46:47], -v[62:63]
	v_add_f64 v[0:1], v[64:65], -v[62:63]
	scratch_store_dwordx2 off, v[0:1], off offset:164 ; 8-byte Folded Spill
	v_cvt_i32_f64_e32 v0, v[38:39]
	scratch_store_dword off, v0, off offset:156 ; 4-byte Folded Spill
.LBB0_80:
	s_or_b64 exec, exec, s[0:1]
	s_mov_b32 s5, 0xbfb921fb
	s_mov_b32 s4, 0x54442d18
	;; [unrolled: 1-line block ×3, first 2 shown]
	v_mul_f64 v[64:65], v[66:67], s[4:5]
	s_mov_b32 s1, 0x41d00000
	v_cmp_nlt_f64_e64 s[2:3], |v[64:65]|, s[0:1]
	v_trig_preop_f64 v[80:81], |v[64:65]|, 0
	v_trig_preop_f64 v[78:79], |v[64:65]|, 1
	;; [unrolled: 1-line block ×3, first 2 shown]
                                        ; implicit-def: $vgpr0
                                        ; kill: killed $vgpr0
                                        ; implicit-def: $vgpr68_vgpr69
                                        ; implicit-def: $vgpr70_vgpr71
	s_and_saveexec_b64 s[0:1], s[2:3]
	s_xor_b64 s[6:7], exec, s[0:1]
	s_cbranch_execz .LBB0_82
; %bb.81:
	s_mov_b32 s0, 0
	s_mov_b32 s1, 0x7b000000
	s_movk_i32 s5, 0xff80
	v_and_b32_e32 v0, 0x7fffffff, v65
	v_ldexp_f64 v[38:39], |v[64:65]|, s5
	v_cmp_ge_f64_e64 vcc, |v[64:65]|, s[0:1]
	s_mov_b32 s0, 0
	s_mov_b32 s1, 0x7ff00000
	v_cndmask_b32_e32 v39, v0, v39, vcc
	v_cndmask_b32_e32 v38, v64, v38, vcc
	v_mul_f64 v[70:71], v[80:81], v[38:39]
	v_mul_f64 v[68:69], v[78:79], v[38:39]
	v_fma_f64 v[72:73], v[80:81], v[38:39], -v[70:71]
	v_add_f64 v[74:75], v[68:69], v[72:73]
	v_add_f64 v[88:89], v[74:75], -v[68:69]
	v_add_f64 v[72:73], v[72:73], -v[88:89]
	v_add_f64 v[88:89], v[74:75], -v[88:89]
	v_add_f64 v[88:89], v[68:69], -v[88:89]
	v_add_f64 v[72:73], v[72:73], v[88:89]
	v_fma_f64 v[68:69], v[78:79], v[38:39], -v[68:69]
	v_mul_f64 v[88:89], v[76:77], v[38:39]
	v_add_f64 v[90:91], v[88:89], v[68:69]
	v_add_f64 v[82:83], v[70:71], v[74:75]
	;; [unrolled: 1-line block ×3, first 2 shown]
	v_ldexp_f64 v[84:85], v[82:83], -2
	v_add_f64 v[70:71], v[82:83], -v[70:71]
	v_add_f64 v[82:83], v[92:93], -v[90:91]
	;; [unrolled: 1-line block ×5, first 2 shown]
	v_add_f64 v[72:73], v[72:73], v[82:83]
	v_add_f64 v[82:83], v[90:91], -v[88:89]
	v_add_f64 v[68:69], v[68:69], -v[82:83]
	v_add_f64 v[82:83], v[90:91], -v[82:83]
	v_add_f64 v[82:83], v[88:89], -v[82:83]
	v_add_f64 v[70:71], v[74:75], -v[70:71]
	v_add_f64 v[68:69], v[68:69], v[82:83]
	v_fract_f64_e32 v[86:87], v[84:85]
	v_add_f64 v[74:75], v[70:71], v[92:93]
	v_add_f64 v[68:69], v[68:69], v[72:73]
	v_fma_f64 v[38:39], v[76:77], v[38:39], -v[88:89]
	v_add_f64 v[70:71], v[74:75], -v[70:71]
	v_add_f64 v[38:39], v[38:39], v[68:69]
	v_ldexp_f64 v[68:69], v[86:87], 2
	v_cmp_neq_f64_e64 vcc, |v[84:85]|, s[0:1]
	v_add_f64 v[70:71], v[92:93], -v[70:71]
	v_add_f64 v[38:39], v[70:71], v[38:39]
	v_cndmask_b32_e32 v69, 0, v69, vcc
	v_cndmask_b32_e32 v68, 0, v68, vcc
	v_add_f64 v[70:71], v[74:75], v[68:69]
	v_mov_b32_e32 v0, 0x40100000
	v_cmp_gt_f64_e32 vcc, 0, v[70:71]
	v_mov_b32_e32 v70, 0
	s_mov_b32 s5, 0x3ff921fb
	v_cndmask_b32_e32 v71, 0, v0, vcc
	v_add_f64 v[68:69], v[68:69], v[70:71]
	v_add_f64 v[72:73], v[74:75], v[68:69]
	v_cvt_i32_f64_e32 v0, v[72:73]
	v_cvt_f64_i32_e32 v[72:73], v0
	v_add_f64 v[68:69], v[68:69], -v[72:73]
	v_add_f64 v[72:73], v[74:75], v[68:69]
	v_cmp_le_f64_e32 vcc, 0.5, v[72:73]
	v_add_f64 v[68:69], v[72:73], -v[68:69]
	v_add_f64 v[68:69], v[74:75], -v[68:69]
	v_addc_co_u32_e64 v0, s[0:1], 0, v0, vcc
	scratch_store_dword off, v0, off offset:172 ; 4-byte Folded Spill
	v_mov_b32_e32 v0, 0x3ff00000
	v_cndmask_b32_e32 v71, 0, v0, vcc
	v_add_f64 v[38:39], v[38:39], v[68:69]
	v_add_f64 v[68:69], v[72:73], -v[70:71]
	v_add_f64 v[70:71], v[68:69], v[38:39]
	v_mul_f64 v[72:73], v[70:71], s[4:5]
	s_mov_b32 s0, 0x33145c07
	v_add_f64 v[68:69], v[70:71], -v[68:69]
	v_fma_f64 v[74:75], v[70:71], s[4:5], -v[72:73]
	s_mov_b32 s1, 0x3c91a626
	v_add_f64 v[38:39], v[38:39], -v[68:69]
	v_fmac_f64_e32 v[74:75], s[0:1], v[70:71]
	v_fmac_f64_e32 v[74:75], s[4:5], v[38:39]
	v_add_f64 v[68:69], v[72:73], v[74:75]
	v_add_f64 v[38:39], v[68:69], -v[72:73]
	v_add_f64 v[70:71], v[74:75], -v[38:39]
	s_andn2_saveexec_b64 s[0:1], s[6:7]
	s_cbranch_execz .LBB0_84
	s_branch .LBB0_83
.LBB0_82:
	s_andn2_saveexec_b64 s[0:1], s[6:7]
	s_cbranch_execz .LBB0_84
.LBB0_83:
	s_mov_b32 s4, 0x6dc9c883
	s_mov_b32 s5, 0x3fe45f30
	v_mul_f64 v[38:39], |v[64:65]|, s[4:5]
	s_mov_b32 s4, 0x54442d18
	v_rndne_f64_e32 v[38:39], v[38:39]
	s_mov_b32 s5, 0xbff921fb
	v_fma_f64 v[68:69], v[38:39], s[4:5], |v[64:65]|
	s_mov_b32 s5, 0xbc91a626
	s_mov_b32 s4, 0x33145c00
	v_mul_f64 v[72:73], v[38:39], s[4:5]
	v_add_f64 v[82:83], v[68:69], v[72:73]
	v_fma_f64 v[70:71], s[4:5], v[38:39], v[68:69]
	s_mov_b32 s5, 0x3c91a626
	v_add_f64 v[68:69], v[68:69], -v[82:83]
	v_fma_f64 v[74:75], s[4:5], v[38:39], v[72:73]
	v_add_f64 v[68:69], v[68:69], v[72:73]
	v_add_f64 v[72:73], v[82:83], -v[70:71]
	v_add_f64 v[68:69], v[72:73], v[68:69]
	s_mov_b32 s4, 0x252049c0
	v_add_f64 v[72:73], v[68:69], -v[74:75]
	s_mov_b32 s5, 0xb97b839a
	v_fmac_f64_e32 v[72:73], s[4:5], v[38:39]
	v_add_f64 v[68:69], v[70:71], v[72:73]
	v_add_f64 v[70:71], v[68:69], -v[70:71]
	v_add_f64 v[70:71], v[72:73], -v[70:71]
	v_cvt_i32_f64_e32 v0, v[38:39]
	scratch_store_dword off, v0, off offset:172 ; 4-byte Folded Spill
.LBB0_84:
	s_or_b64 exec, exec, s[0:1]
                                        ; implicit-def: $vgpr120
                                        ; implicit-def: $vgpr22_vgpr23
                                        ; implicit-def: $vgpr16_vgpr17
	s_and_saveexec_b64 s[0:1], s[2:3]
	s_xor_b64 s[2:3], exec, s[0:1]
	s_cbranch_execz .LBB0_86
; %bb.85:
	s_mov_b32 s0, 0
	s_mov_b32 s1, 0x7b000000
	s_movk_i32 s4, 0xff80
	v_and_b32_e32 v0, 0x7fffffff, v65
	v_ldexp_f64 v[38:39], |v[64:65]|, s4
	v_cmp_ge_f64_e64 vcc, |v[64:65]|, s[0:1]
	s_mov_b32 s0, 0
	s_mov_b32 s1, 0x7ff00000
	v_cndmask_b32_e32 v39, v0, v39, vcc
	v_cndmask_b32_e32 v38, v64, v38, vcc
	v_mul_f64 v[74:75], v[80:81], v[38:39]
	v_mul_f64 v[72:73], v[78:79], v[38:39]
	v_fma_f64 v[80:81], v[80:81], v[38:39], -v[74:75]
	v_add_f64 v[82:83], v[72:73], v[80:81]
	v_add_f64 v[90:91], v[82:83], -v[72:73]
	v_add_f64 v[80:81], v[80:81], -v[90:91]
	;; [unrolled: 1-line block ×4, first 2 shown]
	v_fma_f64 v[72:73], v[78:79], v[38:39], -v[72:73]
	v_mul_f64 v[78:79], v[76:77], v[38:39]
	v_add_f64 v[80:81], v[80:81], v[90:91]
	v_add_f64 v[90:91], v[78:79], v[72:73]
	;; [unrolled: 1-line block ×4, first 2 shown]
	v_ldexp_f64 v[86:87], v[84:85], -2
	v_add_f64 v[74:75], v[84:85], -v[74:75]
	v_add_f64 v[84:85], v[92:93], -v[90:91]
	;; [unrolled: 1-line block ×5, first 2 shown]
	v_add_f64 v[80:81], v[80:81], v[84:85]
	v_add_f64 v[84:85], v[90:91], -v[78:79]
	v_add_f64 v[72:73], v[72:73], -v[84:85]
	;; [unrolled: 1-line block ×5, first 2 shown]
	v_add_f64 v[72:73], v[72:73], v[84:85]
	v_fract_f64_e32 v[88:89], v[86:87]
	v_add_f64 v[82:83], v[74:75], v[92:93]
	v_add_f64 v[72:73], v[72:73], v[80:81]
	v_fma_f64 v[38:39], v[76:77], v[38:39], -v[78:79]
	v_add_f64 v[74:75], v[82:83], -v[74:75]
	v_add_f64 v[38:39], v[38:39], v[72:73]
	v_ldexp_f64 v[72:73], v[88:89], 2
	v_cmp_neq_f64_e64 vcc, |v[86:87]|, s[0:1]
	v_add_f64 v[74:75], v[92:93], -v[74:75]
	v_add_f64 v[38:39], v[74:75], v[38:39]
	v_cndmask_b32_e32 v73, 0, v73, vcc
	v_cndmask_b32_e32 v72, 0, v72, vcc
	v_add_f64 v[74:75], v[82:83], v[72:73]
	v_mov_b32_e32 v0, 0x40100000
	v_cmp_gt_f64_e32 vcc, 0, v[74:75]
	v_mov_b32_e32 v74, 0
	s_mov_b32 s4, 0x33145c07
	v_cndmask_b32_e32 v75, 0, v0, vcc
	v_add_f64 v[72:73], v[72:73], v[74:75]
	v_add_f64 v[76:77], v[82:83], v[72:73]
	v_cvt_i32_f64_e32 v0, v[76:77]
	v_cvt_f64_i32_e32 v[76:77], v0
	v_add_f64 v[72:73], v[72:73], -v[76:77]
	v_add_f64 v[76:77], v[82:83], v[72:73]
	v_cmp_le_f64_e32 vcc, 0.5, v[76:77]
	v_add_f64 v[72:73], v[76:77], -v[72:73]
	v_add_f64 v[72:73], v[82:83], -v[72:73]
	v_addc_co_u32_e64 v120, s[0:1], 0, v0, vcc
	v_mov_b32_e32 v0, 0x3ff00000
	v_cndmask_b32_e32 v75, 0, v0, vcc
	v_add_f64 v[38:39], v[38:39], v[72:73]
	v_add_f64 v[72:73], v[76:77], -v[74:75]
	s_mov_b32 s0, 0x54442d18
	v_add_f64 v[74:75], v[72:73], v[38:39]
	s_mov_b32 s1, 0x3ff921fb
	v_mul_f64 v[76:77], v[74:75], s[0:1]
	v_add_f64 v[72:73], v[74:75], -v[72:73]
	v_fma_f64 v[78:79], v[74:75], s[0:1], -v[76:77]
	s_mov_b32 s5, 0x3c91a626
	v_add_f64 v[38:39], v[38:39], -v[72:73]
	v_fmac_f64_e32 v[78:79], s[4:5], v[74:75]
	v_fmac_f64_e32 v[78:79], s[0:1], v[38:39]
	v_add_f64 v[22:23], v[76:77], v[78:79]
	v_add_f64 v[38:39], v[22:23], -v[76:77]
	v_add_f64 v[16:17], v[78:79], -v[38:39]
	s_andn2_saveexec_b64 s[0:1], s[2:3]
	s_cbranch_execnz .LBB0_87
	s_branch .LBB0_88
.LBB0_86:
	s_andn2_saveexec_b64 s[0:1], s[2:3]
	s_cbranch_execz .LBB0_88
.LBB0_87:
	s_mov_b32 s2, 0x6dc9c883
	s_mov_b32 s3, 0x3fe45f30
	v_mul_f64 v[38:39], |v[64:65]|, s[2:3]
	s_mov_b32 s2, 0x54442d18
	v_rndne_f64_e32 v[38:39], v[38:39]
	s_mov_b32 s3, 0xbff921fb
	v_fma_f64 v[72:73], v[38:39], s[2:3], |v[64:65]|
	s_mov_b32 s3, 0xbc91a626
	s_mov_b32 s2, 0x33145c00
	v_mul_f64 v[76:77], v[38:39], s[2:3]
	v_add_f64 v[80:81], v[72:73], v[76:77]
	v_fma_f64 v[74:75], s[2:3], v[38:39], v[72:73]
	s_mov_b32 s3, 0x3c91a626
	v_add_f64 v[72:73], v[72:73], -v[80:81]
	v_fma_f64 v[78:79], s[2:3], v[38:39], v[76:77]
	v_add_f64 v[72:73], v[72:73], v[76:77]
	v_add_f64 v[76:77], v[80:81], -v[74:75]
	v_add_f64 v[72:73], v[76:77], v[72:73]
	s_mov_b32 s2, 0x252049c0
	v_add_f64 v[76:77], v[72:73], -v[78:79]
	s_mov_b32 s3, 0xb97b839a
	v_fmac_f64_e32 v[76:77], s[2:3], v[38:39]
	v_add_f64 v[22:23], v[74:75], v[76:77]
	v_add_f64 v[74:75], v[22:23], -v[74:75]
	v_add_f64 v[16:17], v[76:77], -v[74:75]
	v_cvt_i32_f64_e32 v120, v[38:39]
.LBB0_88:
	s_or_b64 exec, exec, s[0:1]
	s_mov_b32 s0, 0x2955385e
	s_mov_b32 s1, 0xbfdf6a7a
	v_mul_f64 v[76:77], v[66:67], s[0:1]
	s_mov_b32 s0, 0
	s_mov_b32 s1, 0x41d00000
	v_cmp_nlt_f64_e64 s[2:3], |v[76:77]|, s[0:1]
	v_trig_preop_f64 v[90:91], |v[76:77]|, 0
	v_trig_preop_f64 v[88:89], |v[76:77]|, 1
	;; [unrolled: 1-line block ×3, first 2 shown]
                                        ; implicit-def: $vgpr14
                                        ; implicit-def: $vgpr78_vgpr79
                                        ; implicit-def: $vgpr80_vgpr81
	s_and_saveexec_b64 s[0:1], s[2:3]
	s_xor_b64 s[4:5], exec, s[0:1]
	s_cbranch_execz .LBB0_90
; %bb.89:
	s_mov_b32 s0, 0
	s_mov_b32 s1, 0x7b000000
	s_movk_i32 s6, 0xff80
	v_and_b32_e32 v0, 0x7fffffff, v77
	v_ldexp_f64 v[38:39], |v[76:77]|, s6
	v_cmp_ge_f64_e64 vcc, |v[76:77]|, s[0:1]
	s_mov_b32 s0, 0
	s_mov_b32 s1, 0x7ff00000
	v_cndmask_b32_e32 v39, v0, v39, vcc
	v_cndmask_b32_e32 v38, v76, v38, vcc
	v_mul_f64 v[80:81], v[90:91], v[38:39]
	v_mul_f64 v[78:79], v[88:89], v[38:39]
	v_fma_f64 v[82:83], v[90:91], v[38:39], -v[80:81]
	v_add_f64 v[84:85], v[78:79], v[82:83]
	v_add_f64 v[98:99], v[84:85], -v[78:79]
	v_add_f64 v[82:83], v[82:83], -v[98:99]
	;; [unrolled: 1-line block ×4, first 2 shown]
	v_add_f64 v[82:83], v[82:83], v[98:99]
	v_fma_f64 v[78:79], v[88:89], v[38:39], -v[78:79]
	v_mul_f64 v[98:99], v[86:87], v[38:39]
	v_add_f64 v[100:101], v[98:99], v[78:79]
	v_add_f64 v[92:93], v[80:81], v[84:85]
	;; [unrolled: 1-line block ×3, first 2 shown]
	v_ldexp_f64 v[94:95], v[92:93], -2
	v_add_f64 v[80:81], v[92:93], -v[80:81]
	v_add_f64 v[92:93], v[102:103], -v[100:101]
	;; [unrolled: 1-line block ×5, first 2 shown]
	v_add_f64 v[82:83], v[82:83], v[92:93]
	v_add_f64 v[92:93], v[100:101], -v[98:99]
	v_add_f64 v[78:79], v[78:79], -v[92:93]
	;; [unrolled: 1-line block ×5, first 2 shown]
	v_add_f64 v[78:79], v[78:79], v[92:93]
	v_fract_f64_e32 v[96:97], v[94:95]
	v_add_f64 v[84:85], v[80:81], v[102:103]
	v_add_f64 v[78:79], v[78:79], v[82:83]
	v_fma_f64 v[38:39], v[86:87], v[38:39], -v[98:99]
	v_add_f64 v[80:81], v[84:85], -v[80:81]
	v_add_f64 v[38:39], v[38:39], v[78:79]
	v_ldexp_f64 v[78:79], v[96:97], 2
	v_cmp_neq_f64_e64 vcc, |v[94:95]|, s[0:1]
	v_add_f64 v[80:81], v[102:103], -v[80:81]
	v_add_f64 v[38:39], v[80:81], v[38:39]
	v_cndmask_b32_e32 v79, 0, v79, vcc
	v_cndmask_b32_e32 v78, 0, v78, vcc
	v_add_f64 v[80:81], v[84:85], v[78:79]
	v_mov_b32_e32 v0, 0x40100000
	v_cmp_gt_f64_e32 vcc, 0, v[80:81]
	v_mov_b32_e32 v80, 0
	s_mov_b32 s6, 0x33145c07
	v_cndmask_b32_e32 v81, 0, v0, vcc
	v_add_f64 v[78:79], v[78:79], v[80:81]
	v_add_f64 v[82:83], v[84:85], v[78:79]
	v_cvt_i32_f64_e32 v0, v[82:83]
	v_cvt_f64_i32_e32 v[82:83], v0
	v_add_f64 v[78:79], v[78:79], -v[82:83]
	v_add_f64 v[82:83], v[84:85], v[78:79]
	v_cmp_le_f64_e32 vcc, 0.5, v[82:83]
	v_add_f64 v[78:79], v[82:83], -v[78:79]
	v_add_f64 v[78:79], v[84:85], -v[78:79]
	v_addc_co_u32_e64 v14, s[0:1], 0, v0, vcc
	v_mov_b32_e32 v0, 0x3ff00000
	v_cndmask_b32_e32 v81, 0, v0, vcc
	v_add_f64 v[38:39], v[38:39], v[78:79]
	v_add_f64 v[78:79], v[82:83], -v[80:81]
	s_mov_b32 s0, 0x54442d18
	v_add_f64 v[80:81], v[78:79], v[38:39]
	s_mov_b32 s1, 0x3ff921fb
	v_mul_f64 v[82:83], v[80:81], s[0:1]
	v_add_f64 v[78:79], v[80:81], -v[78:79]
	v_fma_f64 v[84:85], v[80:81], s[0:1], -v[82:83]
	s_mov_b32 s7, 0x3c91a626
	v_add_f64 v[38:39], v[38:39], -v[78:79]
	v_fmac_f64_e32 v[84:85], s[6:7], v[80:81]
	v_fmac_f64_e32 v[84:85], s[0:1], v[38:39]
	v_add_f64 v[78:79], v[82:83], v[84:85]
	v_add_f64 v[38:39], v[78:79], -v[82:83]
	v_add_f64 v[80:81], v[84:85], -v[38:39]
	s_andn2_saveexec_b64 s[0:1], s[4:5]
	s_cbranch_execz .LBB0_92
	s_branch .LBB0_91
.LBB0_90:
	s_andn2_saveexec_b64 s[0:1], s[4:5]
	s_cbranch_execz .LBB0_92
.LBB0_91:
	s_mov_b32 s4, 0x6dc9c883
	s_mov_b32 s5, 0x3fe45f30
	v_mul_f64 v[38:39], |v[76:77]|, s[4:5]
	s_mov_b32 s4, 0x54442d18
	v_rndne_f64_e32 v[38:39], v[38:39]
	s_mov_b32 s5, 0xbff921fb
	v_fma_f64 v[78:79], v[38:39], s[4:5], |v[76:77]|
	s_mov_b32 s5, 0xbc91a626
	s_mov_b32 s4, 0x33145c00
	v_mul_f64 v[82:83], v[38:39], s[4:5]
	v_add_f64 v[92:93], v[78:79], v[82:83]
	v_fma_f64 v[80:81], s[4:5], v[38:39], v[78:79]
	s_mov_b32 s5, 0x3c91a626
	v_add_f64 v[78:79], v[78:79], -v[92:93]
	v_fma_f64 v[84:85], s[4:5], v[38:39], v[82:83]
	v_add_f64 v[78:79], v[78:79], v[82:83]
	v_add_f64 v[82:83], v[92:93], -v[80:81]
	v_add_f64 v[78:79], v[82:83], v[78:79]
	s_mov_b32 s4, 0x252049c0
	v_add_f64 v[82:83], v[78:79], -v[84:85]
	s_mov_b32 s5, 0xb97b839a
	v_fmac_f64_e32 v[82:83], s[4:5], v[38:39]
	v_add_f64 v[78:79], v[80:81], v[82:83]
	v_add_f64 v[80:81], v[78:79], -v[80:81]
	v_add_f64 v[80:81], v[82:83], -v[80:81]
	v_cvt_i32_f64_e32 v14, v[38:39]
.LBB0_92:
	s_or_b64 exec, exec, s[0:1]
                                        ; implicit-def: $vgpr15
                                        ; implicit-def: $vgpr82_vgpr83
                                        ; implicit-def: $vgpr84_vgpr85
	s_and_saveexec_b64 s[0:1], s[2:3]
	s_xor_b64 s[2:3], exec, s[0:1]
	s_cbranch_execz .LBB0_94
; %bb.93:
	s_mov_b32 s0, 0
	s_mov_b32 s1, 0x7b000000
	s_movk_i32 s4, 0xff80
	v_and_b32_e32 v0, 0x7fffffff, v77
	v_ldexp_f64 v[38:39], |v[76:77]|, s4
	v_cmp_ge_f64_e64 vcc, |v[76:77]|, s[0:1]
	s_mov_b32 s0, 0
	s_mov_b32 s1, 0x7ff00000
	v_cndmask_b32_e32 v39, v0, v39, vcc
	v_cndmask_b32_e32 v38, v76, v38, vcc
	v_mul_f64 v[84:85], v[90:91], v[38:39]
	v_mul_f64 v[82:83], v[88:89], v[38:39]
	v_fma_f64 v[90:91], v[90:91], v[38:39], -v[84:85]
	v_add_f64 v[92:93], v[82:83], v[90:91]
	v_add_f64 v[100:101], v[92:93], -v[82:83]
	v_add_f64 v[90:91], v[90:91], -v[100:101]
	;; [unrolled: 1-line block ×4, first 2 shown]
	v_fma_f64 v[82:83], v[88:89], v[38:39], -v[82:83]
	v_mul_f64 v[88:89], v[86:87], v[38:39]
	v_add_f64 v[90:91], v[90:91], v[100:101]
	v_add_f64 v[100:101], v[88:89], v[82:83]
	;; [unrolled: 1-line block ×4, first 2 shown]
	v_ldexp_f64 v[96:97], v[94:95], -2
	v_add_f64 v[84:85], v[94:95], -v[84:85]
	v_add_f64 v[94:95], v[102:103], -v[100:101]
	;; [unrolled: 1-line block ×5, first 2 shown]
	v_add_f64 v[90:91], v[90:91], v[94:95]
	v_add_f64 v[94:95], v[100:101], -v[88:89]
	v_add_f64 v[82:83], v[82:83], -v[94:95]
	;; [unrolled: 1-line block ×5, first 2 shown]
	v_add_f64 v[82:83], v[82:83], v[94:95]
	v_fract_f64_e32 v[98:99], v[96:97]
	v_add_f64 v[92:93], v[84:85], v[102:103]
	v_add_f64 v[82:83], v[82:83], v[90:91]
	v_fma_f64 v[38:39], v[86:87], v[38:39], -v[88:89]
	v_add_f64 v[84:85], v[92:93], -v[84:85]
	v_add_f64 v[38:39], v[38:39], v[82:83]
	v_ldexp_f64 v[82:83], v[98:99], 2
	v_cmp_neq_f64_e64 vcc, |v[96:97]|, s[0:1]
	v_add_f64 v[84:85], v[102:103], -v[84:85]
	v_add_f64 v[38:39], v[84:85], v[38:39]
	v_cndmask_b32_e32 v83, 0, v83, vcc
	v_cndmask_b32_e32 v82, 0, v82, vcc
	v_add_f64 v[84:85], v[92:93], v[82:83]
	v_mov_b32_e32 v0, 0x40100000
	v_cmp_gt_f64_e32 vcc, 0, v[84:85]
	v_mov_b32_e32 v84, 0
	s_mov_b32 s4, 0x33145c07
	v_cndmask_b32_e32 v85, 0, v0, vcc
	v_add_f64 v[82:83], v[82:83], v[84:85]
	v_add_f64 v[86:87], v[92:93], v[82:83]
	v_cvt_i32_f64_e32 v0, v[86:87]
	v_cvt_f64_i32_e32 v[86:87], v0
	v_add_f64 v[82:83], v[82:83], -v[86:87]
	v_add_f64 v[86:87], v[92:93], v[82:83]
	v_cmp_le_f64_e32 vcc, 0.5, v[86:87]
	v_add_f64 v[82:83], v[86:87], -v[82:83]
	v_add_f64 v[82:83], v[92:93], -v[82:83]
	v_addc_co_u32_e64 v15, s[0:1], 0, v0, vcc
	v_mov_b32_e32 v0, 0x3ff00000
	v_cndmask_b32_e32 v85, 0, v0, vcc
	v_add_f64 v[38:39], v[38:39], v[82:83]
	v_add_f64 v[82:83], v[86:87], -v[84:85]
	s_mov_b32 s0, 0x54442d18
	v_add_f64 v[84:85], v[82:83], v[38:39]
	s_mov_b32 s1, 0x3ff921fb
	v_mul_f64 v[86:87], v[84:85], s[0:1]
	v_add_f64 v[82:83], v[84:85], -v[82:83]
	v_fma_f64 v[88:89], v[84:85], s[0:1], -v[86:87]
	s_mov_b32 s5, 0x3c91a626
	v_add_f64 v[38:39], v[38:39], -v[82:83]
	v_fmac_f64_e32 v[88:89], s[4:5], v[84:85]
	v_fmac_f64_e32 v[88:89], s[0:1], v[38:39]
	v_add_f64 v[82:83], v[86:87], v[88:89]
	v_add_f64 v[38:39], v[82:83], -v[86:87]
	v_add_f64 v[84:85], v[88:89], -v[38:39]
	s_andn2_saveexec_b64 s[0:1], s[2:3]
	s_cbranch_execnz .LBB0_95
	s_branch .LBB0_96
.LBB0_94:
	s_andn2_saveexec_b64 s[0:1], s[2:3]
	s_cbranch_execz .LBB0_96
.LBB0_95:
	s_mov_b32 s2, 0x6dc9c883
	s_mov_b32 s3, 0x3fe45f30
	v_mul_f64 v[38:39], |v[76:77]|, s[2:3]
	s_mov_b32 s2, 0x54442d18
	v_rndne_f64_e32 v[38:39], v[38:39]
	s_mov_b32 s3, 0xbff921fb
	v_fma_f64 v[82:83], v[38:39], s[2:3], |v[76:77]|
	s_mov_b32 s3, 0xbc91a626
	s_mov_b32 s2, 0x33145c00
	v_mul_f64 v[86:87], v[38:39], s[2:3]
	v_add_f64 v[90:91], v[82:83], v[86:87]
	v_fma_f64 v[84:85], s[2:3], v[38:39], v[82:83]
	s_mov_b32 s3, 0x3c91a626
	v_add_f64 v[82:83], v[82:83], -v[90:91]
	v_fma_f64 v[88:89], s[2:3], v[38:39], v[86:87]
	v_add_f64 v[82:83], v[82:83], v[86:87]
	v_add_f64 v[86:87], v[90:91], -v[84:85]
	v_add_f64 v[82:83], v[86:87], v[82:83]
	s_mov_b32 s2, 0x252049c0
	v_add_f64 v[86:87], v[82:83], -v[88:89]
	s_mov_b32 s3, 0xb97b839a
	v_fmac_f64_e32 v[86:87], s[2:3], v[38:39]
	v_add_f64 v[82:83], v[84:85], v[86:87]
	v_add_f64 v[84:85], v[82:83], -v[84:85]
	v_add_f64 v[84:85], v[86:87], -v[84:85]
	v_cvt_i32_f64_e32 v15, v[38:39]
.LBB0_96:
	s_or_b64 exec, exec, s[0:1]
	s_mov_b32 s0, 0x7f3321d2
	s_mov_b32 s1, 0xbfd2d97c
	v_mul_f64 v[98:99], v[66:67], s[0:1]
	s_mov_b32 s0, 0
	s_mov_b32 s1, 0x41d00000
	v_cmp_nlt_f64_e64 s[2:3], |v[98:99]|, s[0:1]
	v_trig_preop_f64 v[90:91], |v[98:99]|, 0
	v_trig_preop_f64 v[88:89], |v[98:99]|, 1
	;; [unrolled: 1-line block ×3, first 2 shown]
                                        ; implicit-def: $vgpr38
                                        ; implicit-def: $vgpr104_vgpr105
                                        ; implicit-def: $vgpr106_vgpr107
	s_and_saveexec_b64 s[0:1], s[2:3]
	s_xor_b64 s[4:5], exec, s[0:1]
	s_cbranch_execz .LBB0_98
; %bb.97:
	s_mov_b32 s0, 0
	s_mov_b32 s1, 0x7b000000
	s_movk_i32 s6, 0xff80
	v_and_b32_e32 v0, 0x7fffffff, v99
	v_ldexp_f64 v[38:39], |v[98:99]|, s6
	v_cmp_ge_f64_e64 vcc, |v[98:99]|, s[0:1]
	s_mov_b32 s0, 0
	s_mov_b32 s1, 0x7ff00000
	v_cndmask_b32_e32 v39, v0, v39, vcc
	v_cndmask_b32_e32 v38, v98, v38, vcc
	v_mul_f64 v[94:95], v[90:91], v[38:39]
	v_mul_f64 v[92:93], v[88:89], v[38:39]
	v_fma_f64 v[96:97], v[90:91], v[38:39], -v[94:95]
	v_add_f64 v[100:101], v[92:93], v[96:97]
	v_add_f64 v[108:109], v[100:101], -v[92:93]
	v_add_f64 v[96:97], v[96:97], -v[108:109]
	;; [unrolled: 1-line block ×4, first 2 shown]
	v_add_f64 v[96:97], v[96:97], v[108:109]
	v_fma_f64 v[92:93], v[88:89], v[38:39], -v[92:93]
	v_mul_f64 v[108:109], v[86:87], v[38:39]
	v_add_f64 v[110:111], v[108:109], v[92:93]
	v_add_f64 v[102:103], v[94:95], v[100:101]
	;; [unrolled: 1-line block ×3, first 2 shown]
	v_ldexp_f64 v[104:105], v[102:103], -2
	v_add_f64 v[94:95], v[102:103], -v[94:95]
	v_add_f64 v[102:103], v[112:113], -v[110:111]
	;; [unrolled: 1-line block ×5, first 2 shown]
	v_add_f64 v[96:97], v[96:97], v[102:103]
	v_add_f64 v[102:103], v[110:111], -v[108:109]
	v_add_f64 v[92:93], v[92:93], -v[102:103]
	;; [unrolled: 1-line block ×5, first 2 shown]
	v_add_f64 v[92:93], v[92:93], v[102:103]
	v_fract_f64_e32 v[106:107], v[104:105]
	v_add_f64 v[100:101], v[94:95], v[112:113]
	v_add_f64 v[92:93], v[92:93], v[96:97]
	v_fma_f64 v[38:39], v[86:87], v[38:39], -v[108:109]
	v_add_f64 v[94:95], v[100:101], -v[94:95]
	v_add_f64 v[38:39], v[38:39], v[92:93]
	v_ldexp_f64 v[92:93], v[106:107], 2
	v_cmp_neq_f64_e64 vcc, |v[104:105]|, s[0:1]
	v_add_f64 v[94:95], v[112:113], -v[94:95]
	v_add_f64 v[38:39], v[94:95], v[38:39]
	v_cndmask_b32_e32 v93, 0, v93, vcc
	v_cndmask_b32_e32 v92, 0, v92, vcc
	v_add_f64 v[94:95], v[100:101], v[92:93]
	v_mov_b32_e32 v0, 0x40100000
	v_cmp_gt_f64_e32 vcc, 0, v[94:95]
	v_mov_b32_e32 v94, 0
	s_mov_b32 s6, 0x33145c07
	v_cndmask_b32_e32 v95, 0, v0, vcc
	v_add_f64 v[92:93], v[92:93], v[94:95]
	v_add_f64 v[96:97], v[100:101], v[92:93]
	v_cvt_i32_f64_e32 v0, v[96:97]
	v_cvt_f64_i32_e32 v[96:97], v0
	v_add_f64 v[92:93], v[92:93], -v[96:97]
	v_add_f64 v[96:97], v[100:101], v[92:93]
	v_add_f64 v[92:93], v[96:97], -v[92:93]
	v_add_f64 v[92:93], v[100:101], -v[92:93]
	v_cmp_le_f64_e32 vcc, 0.5, v[96:97]
	v_add_f64 v[92:93], v[38:39], v[92:93]
	s_mov_b32 s7, 0x3c91a626
	v_addc_co_u32_e64 v38, s[0:1], 0, v0, vcc
	v_mov_b32_e32 v0, 0x3ff00000
	v_cndmask_b32_e32 v95, 0, v0, vcc
	v_add_f64 v[94:95], v[96:97], -v[94:95]
	v_add_f64 v[96:97], v[94:95], v[92:93]
	s_mov_b32 s0, 0x54442d18
	v_add_f64 v[94:95], v[96:97], -v[94:95]
	s_mov_b32 s1, 0x3ff921fb
	v_add_f64 v[92:93], v[92:93], -v[94:95]
	v_mul_f64 v[94:95], v[96:97], s[0:1]
	v_fma_f64 v[100:101], v[96:97], s[0:1], -v[94:95]
	v_fmac_f64_e32 v[100:101], s[6:7], v[96:97]
	v_fmac_f64_e32 v[100:101], s[0:1], v[92:93]
	v_add_f64 v[104:105], v[94:95], v[100:101]
	v_add_f64 v[92:93], v[104:105], -v[94:95]
	v_add_f64 v[106:107], v[100:101], -v[92:93]
	s_andn2_saveexec_b64 s[0:1], s[4:5]
	s_cbranch_execz .LBB0_100
	s_branch .LBB0_99
.LBB0_98:
	s_andn2_saveexec_b64 s[0:1], s[4:5]
	s_cbranch_execz .LBB0_100
.LBB0_99:
	s_mov_b32 s4, 0x6dc9c883
	s_mov_b32 s5, 0x3fe45f30
	v_mul_f64 v[38:39], |v[98:99]|, s[4:5]
	s_mov_b32 s4, 0x54442d18
	v_rndne_f64_e32 v[38:39], v[38:39]
	s_mov_b32 s5, 0xbff921fb
	v_fma_f64 v[92:93], v[38:39], s[4:5], |v[98:99]|
	s_mov_b32 s5, 0xbc91a626
	s_mov_b32 s4, 0x33145c00
	v_mul_f64 v[96:97], v[38:39], s[4:5]
	v_add_f64 v[102:103], v[92:93], v[96:97]
	v_fma_f64 v[94:95], s[4:5], v[38:39], v[92:93]
	s_mov_b32 s5, 0x3c91a626
	v_add_f64 v[92:93], v[92:93], -v[102:103]
	v_fma_f64 v[100:101], s[4:5], v[38:39], v[96:97]
	v_add_f64 v[92:93], v[92:93], v[96:97]
	v_add_f64 v[96:97], v[102:103], -v[94:95]
	v_add_f64 v[92:93], v[96:97], v[92:93]
	s_mov_b32 s4, 0x252049c0
	v_add_f64 v[92:93], v[92:93], -v[100:101]
	s_mov_b32 s5, 0xb97b839a
	v_fmac_f64_e32 v[92:93], s[4:5], v[38:39]
	v_add_f64 v[104:105], v[94:95], v[92:93]
	v_add_f64 v[94:95], v[104:105], -v[94:95]
	v_add_f64 v[106:107], v[92:93], -v[94:95]
	v_cvt_i32_f64_e32 v38, v[38:39]
.LBB0_100:
	s_or_b64 exec, exec, s[0:1]
                                        ; implicit-def: $vgpr39
                                        ; implicit-def: $vgpr108_vgpr109
                                        ; implicit-def: $vgpr110_vgpr111
	s_and_saveexec_b64 s[0:1], s[2:3]
	s_xor_b64 s[2:3], exec, s[0:1]
	s_cbranch_execz .LBB0_102
; %bb.101:
	s_mov_b32 s0, 0
	s_mov_b32 s1, 0x7b000000
	s_movk_i32 s4, 0xff80
	v_and_b32_e32 v0, 0x7fffffff, v99
	v_ldexp_f64 v[92:93], |v[98:99]|, s4
	v_cmp_ge_f64_e64 vcc, |v[98:99]|, s[0:1]
	s_mov_b32 s0, 0
	s_mov_b32 s1, 0x7ff00000
	v_cndmask_b32_e32 v93, v0, v93, vcc
	v_cndmask_b32_e32 v92, v98, v92, vcc
	v_mul_f64 v[96:97], v[90:91], v[92:93]
	v_mul_f64 v[94:95], v[88:89], v[92:93]
	v_fma_f64 v[90:91], v[90:91], v[92:93], -v[96:97]
	v_add_f64 v[100:101], v[94:95], v[90:91]
	v_add_f64 v[112:113], v[100:101], -v[94:95]
	v_add_f64 v[90:91], v[90:91], -v[112:113]
	;; [unrolled: 1-line block ×4, first 2 shown]
	v_fma_f64 v[88:89], v[88:89], v[92:93], -v[94:95]
	v_mul_f64 v[94:95], v[86:87], v[92:93]
	v_add_f64 v[90:91], v[90:91], v[112:113]
	v_add_f64 v[112:113], v[94:95], v[88:89]
	;; [unrolled: 1-line block ×4, first 2 shown]
	v_ldexp_f64 v[108:109], v[102:103], -2
	v_add_f64 v[96:97], v[102:103], -v[96:97]
	v_add_f64 v[102:103], v[114:115], -v[112:113]
	;; [unrolled: 1-line block ×5, first 2 shown]
	v_add_f64 v[90:91], v[90:91], v[102:103]
	v_add_f64 v[102:103], v[112:113], -v[94:95]
	v_add_f64 v[88:89], v[88:89], -v[102:103]
	;; [unrolled: 1-line block ×4, first 2 shown]
	v_add_f64 v[88:89], v[88:89], v[102:103]
	v_fract_f64_e32 v[110:111], v[108:109]
	v_add_f64 v[88:89], v[88:89], v[90:91]
	v_fma_f64 v[86:87], v[86:87], v[92:93], -v[94:95]
	v_add_f64 v[96:97], v[100:101], -v[96:97]
	v_add_f64 v[86:87], v[86:87], v[88:89]
	v_ldexp_f64 v[88:89], v[110:111], 2
	v_cmp_neq_f64_e64 vcc, |v[108:109]|, s[0:1]
	v_add_f64 v[100:101], v[96:97], v[114:115]
	v_mov_b32_e32 v0, 0x40100000
	v_cndmask_b32_e32 v89, 0, v89, vcc
	v_cndmask_b32_e32 v88, 0, v88, vcc
	v_add_f64 v[90:91], v[100:101], v[88:89]
	v_cmp_gt_f64_e32 vcc, 0, v[90:91]
	v_mov_b32_e32 v90, 0
	v_add_f64 v[96:97], v[100:101], -v[96:97]
	v_cndmask_b32_e32 v91, 0, v0, vcc
	v_add_f64 v[88:89], v[88:89], v[90:91]
	v_add_f64 v[92:93], v[100:101], v[88:89]
	v_cvt_i32_f64_e32 v0, v[92:93]
	v_cvt_f64_i32_e32 v[92:93], v0
	v_add_f64 v[88:89], v[88:89], -v[92:93]
	v_add_f64 v[92:93], v[100:101], v[88:89]
	v_cmp_le_f64_e32 vcc, 0.5, v[92:93]
	v_add_f64 v[96:97], v[114:115], -v[96:97]
	v_add_f64 v[88:89], v[92:93], -v[88:89]
	v_addc_co_u32_e64 v39, s[0:1], 0, v0, vcc
	v_mov_b32_e32 v0, 0x3ff00000
	v_add_f64 v[86:87], v[96:97], v[86:87]
	v_add_f64 v[88:89], v[100:101], -v[88:89]
	v_cndmask_b32_e32 v91, 0, v0, vcc
	v_add_f64 v[86:87], v[86:87], v[88:89]
	v_add_f64 v[88:89], v[92:93], -v[90:91]
	v_add_f64 v[90:91], v[88:89], v[86:87]
	s_mov_b32 s0, 0x54442d18
	v_add_f64 v[88:89], v[90:91], -v[88:89]
	s_mov_b32 s1, 0x3ff921fb
	v_add_f64 v[86:87], v[86:87], -v[88:89]
	v_mul_f64 v[88:89], v[90:91], s[0:1]
	s_mov_b32 s4, 0x33145c07
	v_fma_f64 v[92:93], v[90:91], s[0:1], -v[88:89]
	s_mov_b32 s5, 0x3c91a626
	v_fmac_f64_e32 v[92:93], s[4:5], v[90:91]
	v_fmac_f64_e32 v[92:93], s[0:1], v[86:87]
	v_add_f64 v[108:109], v[88:89], v[92:93]
	v_add_f64 v[86:87], v[108:109], -v[88:89]
	v_add_f64 v[110:111], v[92:93], -v[86:87]
	s_andn2_saveexec_b64 s[0:1], s[2:3]
	s_cbranch_execnz .LBB0_103
	s_branch .LBB0_104
.LBB0_102:
	s_andn2_saveexec_b64 s[0:1], s[2:3]
	s_cbranch_execz .LBB0_104
.LBB0_103:
	s_mov_b32 s2, 0x6dc9c883
	s_mov_b32 s3, 0x3fe45f30
	v_mul_f64 v[86:87], |v[98:99]|, s[2:3]
	s_mov_b32 s2, 0x54442d18
	v_rndne_f64_e32 v[86:87], v[86:87]
	s_mov_b32 s3, 0xbff921fb
	v_fma_f64 v[88:89], v[86:87], s[2:3], |v[98:99]|
	s_mov_b32 s3, 0xbc91a626
	s_mov_b32 s2, 0x33145c00
	v_mul_f64 v[92:93], v[86:87], s[2:3]
	v_add_f64 v[96:97], v[88:89], v[92:93]
	v_fma_f64 v[90:91], s[2:3], v[86:87], v[88:89]
	s_mov_b32 s3, 0x3c91a626
	v_add_f64 v[88:89], v[88:89], -v[96:97]
	v_fma_f64 v[94:95], s[2:3], v[86:87], v[92:93]
	v_add_f64 v[88:89], v[88:89], v[92:93]
	v_add_f64 v[92:93], v[96:97], -v[90:91]
	v_add_f64 v[88:89], v[92:93], v[88:89]
	s_mov_b32 s2, 0x252049c0
	v_add_f64 v[88:89], v[88:89], -v[94:95]
	s_mov_b32 s3, 0xb97b839a
	v_fmac_f64_e32 v[88:89], s[2:3], v[86:87]
	v_add_f64 v[108:109], v[90:91], v[88:89]
	v_add_f64 v[90:91], v[108:109], -v[90:91]
	v_add_f64 v[110:111], v[88:89], -v[90:91]
	v_cvt_i32_f64_e32 v39, v[86:87]
.LBB0_104:
	s_or_b64 exec, exec, s[0:1]
	s_mov_b32 s0, 0xe9bba775
	s_mov_b32 s1, 0xbfe5fdbb
	v_mul_f64 v[66:67], v[66:67], s[0:1]
	s_mov_b32 s0, 0
	s_mov_b32 s1, 0x41d00000
	v_cmp_nlt_f64_e64 s[2:3], |v[66:67]|, s[0:1]
	v_trig_preop_f64 v[90:91], |v[66:67]|, 0
	v_trig_preop_f64 v[88:89], |v[66:67]|, 1
	;; [unrolled: 1-line block ×3, first 2 shown]
                                        ; implicit-def: $vgpr126
                                        ; implicit-def: $vgpr94_vgpr95
                                        ; implicit-def: $vgpr96_vgpr97
	s_and_saveexec_b64 s[0:1], s[2:3]
	s_xor_b64 s[4:5], exec, s[0:1]
	s_cbranch_execz .LBB0_106
; %bb.105:
	s_mov_b32 s0, 0
	s_mov_b32 s1, 0x7b000000
	s_movk_i32 s6, 0xff80
	v_and_b32_e32 v0, 0x7fffffff, v67
	v_ldexp_f64 v[92:93], |v[66:67]|, s6
	v_cmp_ge_f64_e64 vcc, |v[66:67]|, s[0:1]
	s_mov_b32 s0, 0
	s_mov_b32 s1, 0x7ff00000
	v_cndmask_b32_e32 v93, v0, v93, vcc
	v_cndmask_b32_e32 v92, v66, v92, vcc
	v_mul_f64 v[96:97], v[90:91], v[92:93]
	v_mul_f64 v[94:95], v[88:89], v[92:93]
	v_fma_f64 v[100:101], v[90:91], v[92:93], -v[96:97]
	v_add_f64 v[102:103], v[94:95], v[100:101]
	v_add_f64 v[118:119], v[102:103], -v[94:95]
	v_add_f64 v[100:101], v[100:101], -v[118:119]
	;; [unrolled: 1-line block ×4, first 2 shown]
	v_add_f64 v[112:113], v[96:97], v[102:103]
	v_add_f64 v[100:101], v[100:101], v[118:119]
	v_fma_f64 v[94:95], v[88:89], v[92:93], -v[94:95]
	v_mul_f64 v[118:119], v[86:87], v[92:93]
	v_add_f64 v[126:127], v[118:119], v[94:95]
	v_add_f64 v[96:97], v[112:113], -v[96:97]
	v_add_f64 v[42:43], v[126:127], v[100:101]
	v_add_f64 v[96:97], v[102:103], -v[96:97]
	v_add_f64 v[102:103], v[96:97], v[42:43]
	v_ldexp_f64 v[114:115], v[112:113], -2
	v_add_f64 v[96:97], v[102:103], -v[96:97]
	v_add_f64 v[112:113], v[42:43], -v[126:127]
	;; [unrolled: 1-line block ×6, first 2 shown]
	v_add_f64 v[42:43], v[100:101], v[42:43]
	v_add_f64 v[100:101], v[126:127], -v[118:119]
	v_add_f64 v[94:95], v[94:95], -v[100:101]
	;; [unrolled: 1-line block ×4, first 2 shown]
	v_add_f64 v[94:95], v[94:95], v[100:101]
	v_fract_f64_e32 v[116:117], v[114:115]
	v_add_f64 v[42:43], v[94:95], v[42:43]
	v_fma_f64 v[92:93], v[86:87], v[92:93], -v[118:119]
	v_add_f64 v[42:43], v[92:93], v[42:43]
	v_ldexp_f64 v[92:93], v[116:117], 2
	v_cmp_neq_f64_e64 vcc, |v[114:115]|, s[0:1]
	v_mov_b32_e32 v0, 0x40100000
	v_add_f64 v[42:43], v[96:97], v[42:43]
	v_cndmask_b32_e32 v93, 0, v93, vcc
	v_cndmask_b32_e32 v92, 0, v92, vcc
	v_add_f64 v[94:95], v[102:103], v[92:93]
	v_cmp_gt_f64_e32 vcc, 0, v[94:95]
	v_mov_b32_e32 v94, 0
	s_mov_b32 s6, 0x33145c07
	v_cndmask_b32_e32 v95, 0, v0, vcc
	v_add_f64 v[92:93], v[92:93], v[94:95]
	v_add_f64 v[96:97], v[102:103], v[92:93]
	v_cvt_i32_f64_e32 v0, v[96:97]
	v_cvt_f64_i32_e32 v[96:97], v0
	v_add_f64 v[92:93], v[92:93], -v[96:97]
	v_add_f64 v[96:97], v[102:103], v[92:93]
	v_cmp_le_f64_e32 vcc, 0.5, v[96:97]
	v_add_f64 v[92:93], v[96:97], -v[92:93]
	v_add_f64 v[92:93], v[102:103], -v[92:93]
	v_addc_co_u32_e64 v126, s[0:1], 0, v0, vcc
	v_mov_b32_e32 v0, 0x3ff00000
	v_cndmask_b32_e32 v95, 0, v0, vcc
	v_add_f64 v[42:43], v[42:43], v[92:93]
	v_add_f64 v[92:93], v[96:97], -v[94:95]
	v_add_f64 v[94:95], v[92:93], v[42:43]
	s_mov_b32 s0, 0x54442d18
	v_add_f64 v[92:93], v[94:95], -v[92:93]
	s_mov_b32 s1, 0x3ff921fb
	v_add_f64 v[42:43], v[42:43], -v[92:93]
	v_mul_f64 v[92:93], v[94:95], s[0:1]
	v_fma_f64 v[96:97], v[94:95], s[0:1], -v[92:93]
	s_mov_b32 s7, 0x3c91a626
	v_fmac_f64_e32 v[96:97], s[6:7], v[94:95]
	v_fmac_f64_e32 v[96:97], s[0:1], v[42:43]
	v_add_f64 v[94:95], v[92:93], v[96:97]
	v_add_f64 v[42:43], v[94:95], -v[92:93]
	v_add_f64 v[96:97], v[96:97], -v[42:43]
.LBB0_106:
	s_andn2_saveexec_b64 s[0:1], s[4:5]
	s_cbranch_execz .LBB0_108
; %bb.107:
	s_mov_b32 s4, 0x6dc9c883
	s_mov_b32 s5, 0x3fe45f30
	v_mul_f64 v[42:43], |v[66:67]|, s[4:5]
	s_mov_b32 s4, 0x54442d18
	v_rndne_f64_e32 v[42:43], v[42:43]
	s_mov_b32 s5, 0xbff921fb
	v_fma_f64 v[92:93], v[42:43], s[4:5], |v[66:67]|
	s_mov_b32 s5, 0xbc91a626
	s_mov_b32 s4, 0x33145c00
	v_mul_f64 v[94:95], v[42:43], s[4:5]
	v_add_f64 v[102:103], v[92:93], v[94:95]
	v_fma_f64 v[96:97], s[4:5], v[42:43], v[92:93]
	s_mov_b32 s5, 0x3c91a626
	v_add_f64 v[92:93], v[92:93], -v[102:103]
	v_fma_f64 v[100:101], s[4:5], v[42:43], v[94:95]
	v_add_f64 v[92:93], v[92:93], v[94:95]
	v_add_f64 v[94:95], v[102:103], -v[96:97]
	v_add_f64 v[92:93], v[94:95], v[92:93]
	s_mov_b32 s4, 0x252049c0
	v_add_f64 v[92:93], v[92:93], -v[100:101]
	s_mov_b32 s5, 0xb97b839a
	v_fmac_f64_e32 v[92:93], s[4:5], v[42:43]
	v_add_f64 v[94:95], v[96:97], v[92:93]
	v_add_f64 v[96:97], v[94:95], -v[96:97]
	v_add_f64 v[96:97], v[92:93], -v[96:97]
	v_cvt_i32_f64_e32 v126, v[42:43]
.LBB0_108:
	s_or_b64 exec, exec, s[0:1]
	s_mov_b64 s[6:7], 0x1000
	s_mov_b64 s[8:9], 0x1400
	;; [unrolled: 1-line block ×4, first 2 shown]
                                        ; implicit-def: $vgpr127
                                        ; implicit-def: $vgpr100_vgpr101
                                        ; implicit-def: $vgpr102_vgpr103
	s_and_saveexec_b64 s[0:1], s[2:3]
	s_xor_b64 s[2:3], exec, s[0:1]
	s_cbranch_execz .LBB0_110
; %bb.109:
	s_mov_b32 s0, 0
	s_mov_b32 s1, 0x7b000000
	s_movk_i32 s12, 0xff80
	v_and_b32_e32 v0, 0x7fffffff, v67
	v_ldexp_f64 v[42:43], |v[66:67]|, s12
	v_cmp_ge_f64_e64 vcc, |v[66:67]|, s[0:1]
	s_mov_b32 s0, 0
	s_mov_b32 s1, 0x7ff00000
	v_cndmask_b32_e32 v43, v0, v43, vcc
	v_cndmask_b32_e32 v42, v66, v42, vcc
	v_mul_f64 v[100:101], v[90:91], v[42:43]
	v_mul_f64 v[92:93], v[88:89], v[42:43]
	v_fma_f64 v[90:91], v[90:91], v[42:43], -v[100:101]
	v_add_f64 v[102:103], v[92:93], v[90:91]
	v_add_f64 v[118:119], v[102:103], -v[92:93]
	v_add_f64 v[90:91], v[90:91], -v[118:119]
	;; [unrolled: 1-line block ×3, first 2 shown]
	v_add_f64 v[112:113], v[100:101], v[102:103]
	v_add_f64 v[118:119], v[92:93], -v[118:119]
	v_fma_f64 v[88:89], v[88:89], v[42:43], -v[92:93]
	v_mul_f64 v[92:93], v[86:87], v[42:43]
	v_add_f64 v[90:91], v[90:91], v[118:119]
	v_add_f64 v[118:119], v[92:93], v[88:89]
	v_add_f64 v[100:101], v[112:113], -v[100:101]
	v_add_f64 v[48:49], v[118:119], v[90:91]
	v_add_f64 v[100:101], v[102:103], -v[100:101]
	v_add_f64 v[102:103], v[100:101], v[48:49]
	v_ldexp_f64 v[114:115], v[112:113], -2
	v_add_f64 v[100:101], v[102:103], -v[100:101]
	v_add_f64 v[112:113], v[48:49], -v[118:119]
	;; [unrolled: 1-line block ×6, first 2 shown]
	v_add_f64 v[48:49], v[90:91], v[48:49]
	v_add_f64 v[90:91], v[118:119], -v[92:93]
	v_add_f64 v[88:89], v[88:89], -v[90:91]
	;; [unrolled: 1-line block ×4, first 2 shown]
	v_add_f64 v[88:89], v[88:89], v[90:91]
	v_fract_f64_e32 v[116:117], v[114:115]
	v_add_f64 v[48:49], v[88:89], v[48:49]
	v_fma_f64 v[42:43], v[86:87], v[42:43], -v[92:93]
	v_add_f64 v[42:43], v[42:43], v[48:49]
	v_ldexp_f64 v[48:49], v[116:117], 2
	v_cmp_neq_f64_e64 vcc, |v[114:115]|, s[0:1]
	v_mov_b32_e32 v0, 0x40100000
	v_add_f64 v[42:43], v[100:101], v[42:43]
	v_cndmask_b32_e32 v49, 0, v49, vcc
	v_cndmask_b32_e32 v48, 0, v48, vcc
	v_add_f64 v[86:87], v[102:103], v[48:49]
	v_cmp_gt_f64_e32 vcc, 0, v[86:87]
	v_mov_b32_e32 v86, 0
	s_mov_b32 s12, 0x33145c07
	v_cndmask_b32_e32 v87, 0, v0, vcc
	v_add_f64 v[48:49], v[48:49], v[86:87]
	v_add_f64 v[88:89], v[102:103], v[48:49]
	v_cvt_i32_f64_e32 v0, v[88:89]
	v_cvt_f64_i32_e32 v[88:89], v0
	v_add_f64 v[48:49], v[48:49], -v[88:89]
	v_add_f64 v[88:89], v[102:103], v[48:49]
	v_cmp_le_f64_e32 vcc, 0.5, v[88:89]
	v_add_f64 v[48:49], v[88:89], -v[48:49]
	v_add_f64 v[48:49], v[102:103], -v[48:49]
	v_addc_co_u32_e64 v127, s[0:1], 0, v0, vcc
	v_mov_b32_e32 v0, 0x3ff00000
	v_cndmask_b32_e32 v87, 0, v0, vcc
	v_add_f64 v[42:43], v[42:43], v[48:49]
	v_add_f64 v[48:49], v[88:89], -v[86:87]
	v_add_f64 v[86:87], v[48:49], v[42:43]
	s_mov_b32 s0, 0x54442d18
	v_add_f64 v[48:49], v[86:87], -v[48:49]
	s_mov_b32 s1, 0x3ff921fb
	v_add_f64 v[42:43], v[42:43], -v[48:49]
	v_mul_f64 v[48:49], v[86:87], s[0:1]
	v_fma_f64 v[88:89], v[86:87], s[0:1], -v[48:49]
	s_mov_b32 s13, 0x3c91a626
	v_fmac_f64_e32 v[88:89], s[12:13], v[86:87]
	v_fmac_f64_e32 v[88:89], s[0:1], v[42:43]
	v_add_f64 v[100:101], v[48:49], v[88:89]
	v_add_f64 v[42:43], v[100:101], -v[48:49]
	v_add_f64 v[102:103], v[88:89], -v[42:43]
.LBB0_110:
	s_or_saveexec_b64 s[0:1], s[2:3]
	scratch_load_dwordx2 v[0:1], off, off   ; 8-byte Folded Reload
	s_waitcnt vmcnt(0)
	v_lshl_add_u64 v[34:35], v[0:1], 0, s[6:7]
	scratch_store_dwordx2 off, v[34:35], off offset:200 ; 8-byte Folded Spill
	v_lshl_add_u64 v[34:35], v[0:1], 0, s[8:9]
	scratch_store_dwordx2 off, v[34:35], off offset:192 ; 8-byte Folded Spill
	v_lshl_add_u64 v[34:35], v[0:1], 0, s[10:11]
	v_lshl_add_u64 v[0:1], v[0:1], 0, s[4:5]
	scratch_store_dwordx2 off, v[34:35], off offset:176 ; 8-byte Folded Spill
	scratch_store_dwordx2 off, v[0:1], off offset:184 ; 8-byte Folded Spill
	s_xor_b64 exec, exec, s[0:1]
	s_cbranch_execz .LBB0_112
; %bb.111:
	s_mov_b32 s2, 0x6dc9c883
	s_mov_b32 s3, 0x3fe45f30
	v_mul_f64 v[42:43], |v[66:67]|, s[2:3]
	s_mov_b32 s2, 0x54442d18
	v_rndne_f64_e32 v[42:43], v[42:43]
	s_mov_b32 s3, 0xbff921fb
	v_fma_f64 v[48:49], v[42:43], s[2:3], |v[66:67]|
	s_mov_b32 s3, 0xbc91a626
	s_mov_b32 s2, 0x33145c00
	v_mul_f64 v[100:101], v[42:43], s[2:3]
	v_add_f64 v[114:115], v[48:49], v[100:101]
	v_fma_f64 v[102:103], s[2:3], v[42:43], v[48:49]
	s_mov_b32 s3, 0x3c91a626
	v_add_f64 v[48:49], v[48:49], -v[114:115]
	v_fma_f64 v[112:113], s[2:3], v[42:43], v[100:101]
	v_add_f64 v[48:49], v[48:49], v[100:101]
	v_add_f64 v[100:101], v[114:115], -v[102:103]
	v_add_f64 v[48:49], v[100:101], v[48:49]
	s_mov_b32 s2, 0x252049c0
	v_add_f64 v[48:49], v[48:49], -v[112:113]
	s_mov_b32 s3, 0xb97b839a
	v_fmac_f64_e32 v[48:49], s[2:3], v[42:43]
	v_add_f64 v[100:101], v[102:103], v[48:49]
	v_add_f64 v[102:103], v[100:101], -v[102:103]
	v_add_f64 v[102:103], v[48:49], -v[102:103]
	v_cvt_i32_f64_e32 v127, v[42:43]
.LBB0_112:
	s_or_b64 exec, exec, s[0:1]
	scratch_load_dwordx4 v[34:37], off, off offset:92 ; 16-byte Folded Reload
	scratch_load_dwordx4 v[72:75], off, off offset:60 ; 16-byte Folded Reload
	v_add_f64 v[116:117], v[24:25], -v[28:29]
	v_add_f64 v[112:113], v[24:25], v[28:29]
	v_mul_f64 v[28:29], v[104:105], v[104:105]
	v_mul_f64 v[24:25], v[28:29], 0.5
	v_add_f64 v[118:119], v[26:27], -v[30:31]
	v_add_f64 v[114:115], v[26:27], v[30:31]
	v_add_f64 v[30:31], -v[24:25], 1.0
	s_mov_b32 s0, 0x9037ab78
	v_add_f64 v[26:27], -v[30:31], 1.0
	s_mov_b32 s1, 0x3e21eeb6
	s_mov_b32 s4, 0x46cc5e42
	v_add_f64 v[26:27], v[26:27], -v[24:25]
	s_mov_b32 s5, 0xbda907db
	s_mov_b32 s6, 0xa17f65f6
	v_mov_b64_e32 v[24:25], s[0:1]
	s_mov_b32 s7, 0xbe927e4f
	v_fma_f64 v[42:43], s[4:5], v[28:29], v[24:25]
	s_mov_b32 s8, 0x19f4ec90
	v_fma_f64 v[42:43], v[28:29], v[42:43], s[6:7]
	s_mov_b32 s9, 0x3efa01a0
	s_mov_b32 s10, 0x16c16967
	v_fma_f64 v[42:43], v[28:29], v[42:43], s[8:9]
	s_mov_b32 s11, 0xbf56c16c
	;; [unrolled: 3-line block ×3, first 2 shown]
	s_mov_b32 s0, 0xb42fdfa7
	v_fma_f64 v[42:43], v[28:29], v[42:43], s[12:13]
	v_fma_f64 v[48:49], v[104:105], -v[106:107], v[26:27]
	v_mul_f64 v[26:27], v[28:29], v[28:29]
	s_mov_b32 s1, 0xbe5ae600
	s_mov_b32 s14, 0xf9a43bb8
	v_fmac_f64_e32 v[48:49], v[26:27], v[42:43]
	s_mov_b32 s15, 0x3de5e0b2
	s_mov_b32 s16, 0x796cde01
	v_mov_b64_e32 v[26:27], s[0:1]
	s_mov_b32 s17, 0x3ec71de3
	v_fma_f64 v[42:43], s[14:15], v[28:29], v[26:27]
	s_mov_b32 s18, 0x19e83e5c
	v_fma_f64 v[42:43], v[28:29], v[42:43], s[16:17]
	s_mov_b32 s19, 0xbf2a01a0
	s_mov_b32 s20, 0x11110bb3
	v_fma_f64 v[42:43], v[28:29], v[42:43], s[18:19]
	s_mov_b32 s21, 0x3f811111
	v_fma_f64 v[42:43], v[28:29], v[42:43], s[20:21]
	v_mul_f64 v[52:53], v[104:105], -v[28:29]
	v_mul_f64 v[86:87], v[106:107], 0.5
	v_fmac_f64_e32 v[86:87], v[52:53], v[42:43]
	v_mul_f64 v[42:43], v[108:109], v[108:109]
	v_fma_f64 v[28:29], v[28:29], v[86:87], -v[106:107]
	v_fma_f64 v[86:87], s[14:15], v[42:43], v[26:27]
	v_fma_f64 v[86:87], v[42:43], v[86:87], s[16:17]
	;; [unrolled: 1-line block ×4, first 2 shown]
	v_mul_f64 v[106:107], v[108:109], -v[42:43]
	v_mul_f64 v[88:89], v[110:111], 0.5
	v_fmac_f64_e32 v[88:89], v[106:107], v[86:87]
	v_mul_f64 v[86:87], v[42:43], 0.5
	v_add_f64 v[90:91], -v[86:87], 1.0
	v_add_f64 v[92:93], -v[90:91], 1.0
	v_add_f64 v[86:87], v[92:93], -v[86:87]
	v_fma_f64 v[92:93], s[4:5], v[42:43], v[24:25]
	v_fma_f64 v[92:93], v[42:43], v[92:93], s[6:7]
	;; [unrolled: 1-line block ×4, first 2 shown]
	v_fma_f64 v[88:89], v[42:43], v[88:89], -v[110:111]
	v_fma_f64 v[86:87], v[108:109], -v[110:111], v[86:87]
	v_fma_f64 v[92:93], v[42:43], v[92:93], s[12:13]
	v_mul_f64 v[42:43], v[42:43], v[42:43]
	s_mov_b32 s23, 0xbfc55555
	s_mov_b32 s22, s12
	v_fmac_f64_e32 v[86:87], v[42:43], v[92:93]
	v_fmac_f64_e32 v[88:89], s[22:23], v[106:107]
	v_and_b32_e32 v0, 1, v39
	v_mov_b64_e32 v[62:63], v[4:5]
	v_add_f64 v[42:43], v[108:109], -v[88:89]
	v_add_f64 v[86:87], v[90:91], v[86:87]
	v_cmp_eq_u32_e32 vcc, 0, v0
	v_add_f64 v[90:91], v[4:5], -v[8:9]
	s_waitcnt vmcnt(0)
	v_add_f64 v[88:89], v[20:21], -v[74:75]
	v_fmac_f64_e32 v[28:29], s[22:23], v[52:53]
	v_mov_b64_e32 v[60:61], v[2:3]
	v_and_b32_e32 v2, 1, v38
	s_mov_b32 s2, 0x667f3bcd
	v_cndmask_b32_e32 v0, v86, v42, vcc
	v_cndmask_b32_e32 v1, v87, v43, vcc
	v_add_f64 v[42:43], v[36:37], -v[124:125]
	v_add_f64 v[92:93], -v[88:89], -v[90:91]
	v_add_f64 v[88:89], v[88:89], -v[90:91]
	v_add_f64 v[30:31], v[30:31], v[48:49]
	v_add_f64 v[28:29], v[104:105], -v[28:29]
	v_cmp_eq_u32_e32 vcc, 0, v2
	s_mov_b32 s3, 0x3fe6a09e
	v_add_f64 v[86:87], v[118:119], -v[42:43]
	v_add_f64 v[42:43], v[42:43], v[118:119]
	v_xor_b32_e32 v2, 0x80000000, v29
	v_cndmask_b32_e32 v3, v28, v30, vcc
	v_add_f64 v[48:49], v[18:19], -v[72:73]
	v_add_f64 v[28:29], v[60:61], -v[6:7]
	v_mul_f64 v[118:119], v[92:93], s[2:3]
	v_mul_f64 v[110:111], v[88:89], s[2:3]
	v_lshlrev_b32_e32 v4, 30, v39
	v_fma_f64 v[52:53], v[48:49], 0, -v[28:29]
	v_fmac_f64_e32 v[48:49], 0, v[28:29]
	v_fma_f64 v[104:105], v[86:87], s[2:3], -v[118:119]
	v_fma_f64 v[28:29], v[42:43], s[2:3], -v[110:111]
	s_movk_i32 s25, 0x1f8
	v_xor_b32_e32 v4, v4, v99
	s_brev_b32 s24, 1
	v_add_f64 v[92:93], v[34:35], -v[122:123]
	v_cndmask_b32_e32 v2, v2, v31, vcc
	v_fma_f64 v[106:107], v[104:105], 0, -v[28:29]
	v_fmac_f64_e32 v[104:105], 0, v[28:29]
	v_cmp_class_f64_e64 vcc, v[98:99], s25
	v_lshlrev_b32_e32 v5, 30, v38
	v_mov_b32_e32 v38, 0x7ff80000
	v_bitop3_b32 v1, v1, v4, s24 bitop3:0x78
	v_add_f64 v[98:99], v[116:117], -v[52:53]
	v_add_f64 v[108:109], v[92:93], -v[48:49]
	v_bitop3_b32 v2, v2, v5, s24 bitop3:0x78
	v_cndmask_b32_e32 v88, 0, v0, vcc
	v_cndmask_b32_e32 v89, v38, v1, vcc
	v_add_f64 v[90:91], v[98:99], v[106:107]
	v_add_f64 v[0:1], v[108:109], v[104:105]
	v_cndmask_b32_e32 v30, 0, v3, vcc
	v_cndmask_b32_e32 v31, v38, v2, vcc
	v_mul_f64 v[28:29], v[0:1], v[88:89]
	v_mul_f64 v[2:3], v[90:91], v[88:89]
	v_fmac_f64_e32 v[28:29], v[90:91], v[30:31]
	v_fma_f64 v[30:31], v[0:1], v[30:31], -v[2:3]
	v_mul_f64 v[0:1], v[78:79], v[78:79]
	v_mul_f64 v[2:3], v[0:1], 0.5
	v_add_f64 v[88:89], -v[2:3], 1.0
	v_add_f64 v[90:91], -v[88:89], 1.0
	v_add_f64 v[2:3], v[90:91], -v[2:3]
	v_fma_f64 v[90:91], s[4:5], v[0:1], v[24:25]
	v_fma_f64 v[90:91], v[0:1], v[90:91], s[6:7]
	;; [unrolled: 1-line block ×5, first 2 shown]
	v_fma_f64 v[2:3], v[78:79], -v[80:81], v[2:3]
	v_mul_f64 v[4:5], v[0:1], v[0:1]
	v_fmac_f64_e32 v[2:3], v[4:5], v[90:91]
	v_fma_f64 v[4:5], s[14:15], v[0:1], v[26:27]
	v_fma_f64 v[4:5], v[0:1], v[4:5], s[16:17]
	;; [unrolled: 1-line block ×3, first 2 shown]
	v_mov_b64_e32 v[58:59], v[8:9]
	v_fma_f64 v[4:5], v[0:1], v[4:5], s[20:21]
	v_mov_b64_e32 v[56:57], v[6:7]
	v_mul_f64 v[6:7], v[78:79], -v[0:1]
	v_mul_f64 v[90:91], v[80:81], 0.5
	v_fmac_f64_e32 v[90:91], v[6:7], v[4:5]
	v_mul_f64 v[4:5], v[82:83], v[82:83]
	v_fma_f64 v[0:1], v[0:1], v[90:91], -v[80:81]
	v_fma_f64 v[80:81], s[14:15], v[4:5], v[26:27]
	v_fma_f64 v[80:81], v[4:5], v[80:81], s[16:17]
	;; [unrolled: 1-line block ×4, first 2 shown]
	v_mul_f64 v[90:91], v[82:83], -v[4:5]
	v_mul_f64 v[8:9], v[84:85], 0.5
	v_mul_f64 v[10:11], v[4:5], 0.5
	v_fmac_f64_e32 v[8:9], v[90:91], v[80:81]
	v_add_f64 v[80:81], -v[10:11], 1.0
	v_add_f64 v[12:13], -v[80:81], 1.0
	v_add_f64 v[10:11], v[12:13], -v[10:11]
	v_fma_f64 v[12:13], s[4:5], v[4:5], v[24:25]
	v_fma_f64 v[12:13], v[4:5], v[12:13], s[6:7]
	;; [unrolled: 1-line block ×4, first 2 shown]
	v_fma_f64 v[8:9], v[4:5], v[8:9], -v[84:85]
	v_fma_f64 v[10:11], v[82:83], -v[84:85], v[10:11]
	v_fma_f64 v[12:13], v[4:5], v[12:13], s[12:13]
	v_mul_f64 v[4:5], v[4:5], v[4:5]
	v_fmac_f64_e32 v[10:11], v[4:5], v[12:13]
	v_fmac_f64_e32 v[8:9], s[22:23], v[90:91]
	v_add_f64 v[4:5], v[82:83], -v[8:9]
	v_add_f64 v[8:9], v[80:81], v[10:11]
	v_and_b32_e32 v10, 1, v15
	v_fmac_f64_e32 v[0:1], s[22:23], v[6:7]
	v_cmp_eq_u32_e32 vcc, 0, v10
	v_add_f64 v[0:1], v[78:79], -v[0:1]
	v_and_b32_e32 v6, 1, v14
	v_cndmask_b32_e32 v8, v8, v4, vcc
	v_cndmask_b32_e32 v9, v9, v5, vcc
	v_add_f64 v[2:3], v[88:89], v[2:3]
	v_cmp_eq_u32_e32 vcc, 0, v6
	v_xor_b32_e32 v1, 0x80000000, v1
	v_lshlrev_b32_e32 v6, 30, v15
	v_cndmask_b32_e32 v3, v1, v3, vcc
	v_xor_b32_e32 v6, v6, v77
	v_lshlrev_b32_e32 v7, 30, v14
	v_add_f64 v[4:5], v[116:117], v[52:53]
	v_fmac_f64_e32 v[118:119], s[2:3], v[86:87]
	v_cndmask_b32_e32 v2, v0, v2, vcc
	v_add_f64 v[0:1], v[92:93], v[48:49]
	v_fmac_f64_e32 v[110:111], s[2:3], v[42:43]
	v_cmp_class_f64_e64 vcc, v[76:77], s25
	v_bitop3_b32 v3, v3, v7, s24 bitop3:0x78
	v_bitop3_b32 v7, v9, v6, s24 bitop3:0x78
	v_cndmask_b32_e32 v6, 0, v8, vcc
	v_cndmask_b32_e32 v7, v38, v7, vcc
	v_add_f64 v[8:9], v[4:5], -v[118:119]
	v_add_f64 v[10:11], v[0:1], -v[110:111]
	v_cndmask_b32_e32 v2, 0, v2, vcc
	v_cndmask_b32_e32 v3, v38, v3, vcc
	v_mul_f64 v[76:77], v[10:11], v[6:7]
	v_mul_f64 v[6:7], v[8:9], v[6:7]
	v_fmac_f64_e32 v[76:77], v[8:9], v[2:3]
	v_fma_f64 v[78:79], v[10:11], v[2:3], -v[6:7]
	v_mul_f64 v[2:3], v[68:69], v[68:69]
	v_mul_f64 v[6:7], v[2:3], 0.5
	v_add_f64 v[8:9], -v[6:7], 1.0
	v_add_f64 v[10:11], -v[8:9], 1.0
	v_add_f64 v[6:7], v[10:11], -v[6:7]
	v_fma_f64 v[10:11], s[4:5], v[2:3], v[24:25]
	v_fma_f64 v[10:11], v[2:3], v[10:11], s[6:7]
	;; [unrolled: 1-line block ×5, first 2 shown]
	v_fma_f64 v[6:7], v[68:69], -v[70:71], v[6:7]
	v_mul_f64 v[12:13], v[2:3], v[2:3]
	v_fmac_f64_e32 v[6:7], v[12:13], v[10:11]
	v_add_f64 v[6:7], v[8:9], v[6:7]
	scratch_load_dword v9, off, off offset:172 ; 4-byte Folded Reload
	v_fma_f64 v[10:11], s[14:15], v[2:3], v[26:27]
	v_fma_f64 v[10:11], v[2:3], v[10:11], s[16:17]
	;; [unrolled: 1-line block ×4, first 2 shown]
	v_mul_f64 v[12:13], v[68:69], -v[2:3]
	v_mul_f64 v[14:15], v[70:71], 0.5
	v_fmac_f64_e32 v[14:15], v[12:13], v[10:11]
	v_mul_f64 v[10:11], v[22:23], v[22:23]
	v_fma_f64 v[2:3], v[2:3], v[14:15], -v[70:71]
	v_fma_f64 v[14:15], s[14:15], v[10:11], v[26:27]
	v_fma_f64 v[14:15], v[10:11], v[14:15], s[16:17]
	;; [unrolled: 1-line block ×4, first 2 shown]
	v_mul_f64 v[42:43], v[22:23], -v[10:11]
	v_mul_f64 v[48:49], v[16:17], 0.5
	v_fmac_f64_e32 v[48:49], v[42:43], v[14:15]
	v_mul_f64 v[14:15], v[10:11], 0.5
	v_add_f64 v[52:53], -v[14:15], 1.0
	v_add_f64 v[70:71], -v[52:53], 1.0
	v_add_f64 v[14:15], v[70:71], -v[14:15]
	v_fma_f64 v[48:49], v[10:11], v[48:49], -v[16:17]
	v_fma_f64 v[14:15], v[22:23], -v[16:17], v[14:15]
	v_add_f64 v[16:17], v[18:19], v[72:73]
	v_add_f64 v[18:19], v[20:21], v[74:75]
	scratch_load_dwordx2 v[20:21], off, off offset:148 ; 8-byte Folded Reload
	v_fma_f64 v[70:71], s[4:5], v[10:11], v[24:25]
	v_fma_f64 v[70:71], v[10:11], v[70:71], s[6:7]
	;; [unrolled: 1-line block ×5, first 2 shown]
	v_mul_f64 v[10:11], v[10:11], v[10:11]
	v_fmac_f64_e32 v[14:15], v[10:11], v[70:71]
	v_fmac_f64_e32 v[48:49], s[22:23], v[42:43]
	v_and_b32_e32 v39, 1, v120
	v_fmac_f64_e32 v[2:3], s[22:23], v[12:13]
	v_add_f64 v[10:11], v[22:23], -v[48:49]
	v_add_f64 v[14:15], v[52:53], v[14:15]
	v_cmp_eq_u32_e32 vcc, 0, v39
	v_add_f64 v[2:3], v[68:69], -v[2:3]
	v_xor_b32_e32 v3, 0x80000000, v3
	v_cndmask_b32_e32 v10, v14, v10, vcc
	v_cndmask_b32_e32 v11, v15, v11, vcc
	v_add_f64 v[0:1], v[0:1], v[110:111]
	v_add_f64 v[4:5], v[4:5], v[118:119]
	s_waitcnt vmcnt(1)
	v_and_b32_e32 v8, 1, v9
	v_cmp_eq_u32_e32 vcc, 0, v8
	s_nop 1
	v_cndmask_b32_e32 v3, v3, v7, vcc
	v_lshlrev_b32_e32 v7, 30, v9
	v_add_f64 v[8:9], v[34:35], v[122:123]
	scratch_load_dwordx2 v[34:35], off, off offset:164 ; 8-byte Folded Reload
	v_cndmask_b32_e32 v2, v2, v6, vcc
	v_lshlrev_b32_e32 v6, 30, v120
	v_xor_b32_e32 v6, v6, v65
	v_bitop3_b32 v3, v3, v7, s24 bitop3:0x78
	v_cmp_class_f64_e64 vcc, v[64:65], s25
	v_bitop3_b32 v7, v11, v6, s24 bitop3:0x78
	s_waitcnt vmcnt(0)
	v_mul_f64 v[48:49], v[34:35], 0.5
	v_cndmask_b32_e32 v6, 0, v10, vcc
	v_cndmask_b32_e32 v7, v38, v7, vcc
	v_cndmask_b32_e32 v2, 0, v2, vcc
	v_cndmask_b32_e32 v3, v38, v3, vcc
	v_mul_f64 v[64:65], v[0:1], v[6:7]
	v_fmac_f64_e32 v[64:65], v[4:5], v[2:3]
	v_mul_f64 v[4:5], v[4:5], v[6:7]
	v_fma_f64 v[68:69], v[0:1], v[2:3], -v[4:5]
	v_mul_f64 v[0:1], v[40:41], v[40:41]
	v_mul_f64 v[2:3], v[0:1], 0.5
	v_add_f64 v[12:13], -v[2:3], 1.0
	v_add_f64 v[6:7], -v[12:13], 1.0
	v_add_f64 v[2:3], v[6:7], -v[2:3]
	v_fma_f64 v[6:7], s[4:5], v[0:1], v[24:25]
	v_fma_f64 v[6:7], v[0:1], v[6:7], s[6:7]
	;; [unrolled: 1-line block ×4, first 2 shown]
	v_mul_f64 v[4:5], v[0:1], v[0:1]
	v_fma_f64 v[6:7], v[0:1], v[6:7], s[12:13]
	v_fma_f64 v[2:3], v[40:41], -v[20:21], v[2:3]
	v_fmac_f64_e32 v[2:3], v[4:5], v[6:7]
	v_fma_f64 v[4:5], s[14:15], v[0:1], v[26:27]
	v_fma_f64 v[4:5], v[0:1], v[4:5], s[16:17]
	;; [unrolled: 1-line block ×3, first 2 shown]
	v_mul_f64 v[14:15], v[40:41], -v[0:1]
	v_fma_f64 v[4:5], v[0:1], v[4:5], s[20:21]
	v_mul_f64 v[6:7], v[20:21], 0.5
	v_fmac_f64_e32 v[6:7], v[14:15], v[4:5]
	v_fma_f64 v[0:1], v[0:1], v[6:7], -v[20:21]
	v_mul_f64 v[20:21], v[46:47], v[46:47]
	v_fma_f64 v[42:43], s[14:15], v[20:21], v[26:27]
	v_fma_f64 v[42:43], v[20:21], v[42:43], s[16:17]
	;; [unrolled: 1-line block ×3, first 2 shown]
	v_mul_f64 v[22:23], v[46:47], -v[20:21]
	v_fma_f64 v[42:43], v[20:21], v[42:43], s[20:21]
	v_fmac_f64_e32 v[48:49], v[22:23], v[42:43]
	v_mul_f64 v[42:43], v[20:21], 0.5
	v_add_f64 v[52:53], -v[42:43], 1.0
	v_add_f64 v[6:7], v[62:63], v[58:59]
	v_add_f64 v[58:59], -v[52:53], 1.0
	v_add_f64 v[42:43], v[58:59], -v[42:43]
	v_fma_f64 v[48:49], v[20:21], v[48:49], -v[34:35]
	v_fma_f64 v[42:43], v[46:47], -v[34:35], v[42:43]
	scratch_load_dword v34, off, off offset:140 ; 4-byte Folded Reload
	v_fma_f64 v[58:59], s[4:5], v[20:21], v[24:25]
	v_fma_f64 v[58:59], v[20:21], v[58:59], s[6:7]
	v_fmac_f64_e32 v[0:1], s[22:23], v[14:15]
	v_fma_f64 v[58:59], v[20:21], v[58:59], s[8:9]
	v_add_f64 v[0:1], v[40:41], -v[0:1]
	v_fma_f64 v[58:59], v[20:21], v[58:59], s[10:11]
	v_add_f64 v[2:3], v[12:13], v[2:3]
	v_xor_b32_e32 v1, 0x80000000, v1
	v_fma_f64 v[58:59], v[20:21], v[58:59], s[12:13]
	v_mul_f64 v[20:21], v[20:21], v[20:21]
	v_fmac_f64_e32 v[42:43], v[20:21], v[58:59]
	v_fmac_f64_e32 v[48:49], s[22:23], v[22:23]
	v_add_f64 v[22:23], v[52:53], v[42:43]
	v_add_f64 v[10:11], v[36:37], v[124:125]
	;; [unrolled: 1-line block ×3, first 2 shown]
	v_add_f64 v[12:13], v[114:115], -v[18:19]
	v_add_f64 v[14:15], v[10:11], -v[6:7]
	v_fma_f64 v[56:57], v[12:13], 0, -v[14:15]
	v_add_f64 v[62:63], v[8:9], -v[4:5]
	v_fmac_f64_e32 v[12:13], 0, v[14:15]
	v_add_f64 v[20:21], v[112:113], -v[16:17]
	v_add_f64 v[14:15], v[62:63], -v[12:13]
	v_add_f64 v[6:7], v[10:11], v[6:7]
	scratch_load_dwordx2 v[36:37], off, off offset:112 ; 8-byte Folded Reload
	scratch_load_dwordx2 v[40:41], off, off offset:120 ; 8-byte Folded Reload
	v_add_f64 v[16:17], v[112:113], v[16:17]
	v_add_f64 v[18:19], v[114:115], v[18:19]
	;; [unrolled: 1-line block ×3, first 2 shown]
	v_add_f64 v[8:9], v[4:5], -v[6:7]
	v_add_f64 v[4:5], v[4:5], v[6:7]
	v_mul_f64 v[6:7], v[94:95], v[94:95]
	s_waitcnt vmcnt(2)
	v_and_b32_e32 v39, 1, v34
	v_cmp_eq_u32_e32 vcc, 0, v39
	v_lshlrev_b32_e32 v39, 30, v34
	scratch_load_dword v34, off, off offset:156 ; 4-byte Folded Reload
	v_cndmask_b32_e32 v1, v1, v3, vcc
	v_cndmask_b32_e32 v0, v0, v2, vcc
	v_bitop3_b32 v1, v1, v39, s24 bitop3:0x78
	v_cmp_class_f64_e64 vcc, v[54:55], s25
	v_add_f64 v[2:3], v[20:21], -v[56:57]
	s_waitcnt vmcnt(0)
	v_and_b32_e32 v39, 1, v34
	v_cndmask_b32_e32 v58, 0, v0, vcc
	v_cndmask_b32_e32 v59, v38, v1, vcc
	v_add_f64 v[0:1], v[46:47], -v[48:49]
	v_cmp_eq_u32_e64 s[0:1], 0, v39
	s_nop 1
	v_cndmask_b32_e64 v0, v22, v0, s[0:1]
	v_lshlrev_b32_e32 v22, 30, v34
	scratch_load_dword v34, off, off offset:108 ; 4-byte Folded Reload
	v_cndmask_b32_e64 v1, v23, v1, s[0:1]
	v_xor_b32_e32 v22, v22, v55
	v_bitop3_b32 v1, v1, v22, s24 bitop3:0x78
	v_cndmask_b32_e32 v22, 0, v0, vcc
	v_cndmask_b32_e32 v23, v38, v1, vcc
	v_mul_f64 v[0:1], v[14:15], v[22:23]
	v_fmac_f64_e32 v[0:1], v[2:3], v[58:59]
	v_mul_f64 v[2:3], v[2:3], v[22:23]
	v_fma_f64 v[2:3], v[14:15], v[58:59], -v[2:3]
	v_add_f64 v[14:15], v[20:21], v[56:57]
	v_mul_f64 v[20:21], v[36:37], v[36:37]
	v_mul_f64 v[22:23], v[20:21], 0.5
	v_fma_f64 v[52:53], s[4:5], v[20:21], v[24:25]
	v_add_f64 v[42:43], -v[22:23], 1.0
	v_fma_f64 v[52:53], v[20:21], v[52:53], s[6:7]
	v_fma_f64 v[52:53], v[20:21], v[52:53], s[8:9]
	v_add_f64 v[54:55], -v[42:43], 1.0
	v_fma_f64 v[52:53], v[20:21], v[52:53], s[10:11]
	v_add_f64 v[22:23], v[54:55], -v[22:23]
	v_mul_f64 v[48:49], v[20:21], v[20:21]
	v_fma_f64 v[52:53], v[20:21], v[52:53], s[12:13]
	v_fma_f64 v[22:23], v[36:37], -v[40:41], v[22:23]
	v_fmac_f64_e32 v[22:23], v[48:49], v[52:53]
	v_fma_f64 v[48:49], s[14:15], v[20:21], v[26:27]
	v_fma_f64 v[48:49], v[20:21], v[48:49], s[16:17]
	;; [unrolled: 1-line block ×3, first 2 shown]
	v_add_f64 v[22:23], v[42:43], v[22:23]
	v_mul_f64 v[42:43], v[36:37], -v[20:21]
	v_fma_f64 v[48:49], v[20:21], v[48:49], s[20:21]
	v_mul_f64 v[52:53], v[40:41], 0.5
	v_fmac_f64_e32 v[52:53], v[42:43], v[48:49]
	v_fma_f64 v[20:21], v[20:21], v[52:53], -v[40:41]
	v_fmac_f64_e32 v[20:21], s[22:23], v[42:43]
	v_add_f64 v[20:21], v[36:37], -v[20:21]
	scratch_load_dwordx2 v[36:37], off, off offset:132 ; 8-byte Folded Reload
	v_xor_b32_e32 v21, 0x80000000, v21
	scratch_load_dwordx2 v[40:41], off, off offset:76 ; 8-byte Folded Reload
	s_waitcnt vmcnt(2)
	v_and_b32_e32 v39, 1, v34
	v_cmp_eq_u32_e32 vcc, 0, v39
	s_waitcnt vmcnt(0)
	v_mul_f64 v[10:11], v[40:41], v[40:41]
	v_cndmask_b32_e32 v20, v20, v22, vcc
	v_lshlrev_b32_e32 v22, 30, v34
	scratch_load_dword v34, off, off offset:128 ; 4-byte Folded Reload
	v_cndmask_b32_e32 v21, v21, v23, vcc
	v_bitop3_b32 v21, v21, v22, s24 bitop3:0x78
	v_add_f64 v[22:23], v[62:63], v[12:13]
	v_mul_f64 v[12:13], v[50:51], v[50:51]
	v_fma_f64 v[46:47], s[14:15], v[12:13], v[26:27]
	v_fma_f64 v[46:47], v[12:13], v[46:47], s[16:17]
	;; [unrolled: 1-line block ×3, first 2 shown]
	v_mul_f64 v[42:43], v[50:51], -v[12:13]
	v_fma_f64 v[46:47], v[12:13], v[46:47], s[20:21]
	v_fma_f64 v[54:55], s[4:5], v[12:13], v[24:25]
	;; [unrolled: 1-line block ×5, first 2 shown]
	v_mul_f64 v[52:53], v[12:13], v[12:13]
	v_cmp_class_f64_e64 vcc, v[44:45], s25
	s_waitcnt vmcnt(0)
	v_and_b32_e32 v39, 1, v34
	v_cmp_eq_u32_e64 s[0:1], 0, v39
	v_lshlrev_b32_e32 v39, 30, v34
	scratch_load_dwordx2 v[34:35], off, off offset:44 ; 8-byte Folded Reload
	v_mul_f64 v[48:49], v[36:37], 0.5
	v_fmac_f64_e32 v[48:49], v[42:43], v[46:47]
	v_fma_f64 v[46:47], v[12:13], v[48:49], -v[36:37]
	v_fmac_f64_e32 v[46:47], s[22:23], v[42:43]
	v_add_f64 v[42:43], v[50:51], -v[46:47]
	v_mul_f64 v[46:47], v[12:13], 0.5
	v_add_f64 v[48:49], -v[46:47], 1.0
	v_fma_f64 v[12:13], v[12:13], v[54:55], s[12:13]
	v_add_f64 v[54:55], -v[48:49], 1.0
	v_add_f64 v[46:47], v[54:55], -v[46:47]
	v_fma_f64 v[46:47], v[50:51], -v[36:37], v[46:47]
	v_fmac_f64_e32 v[46:47], v[52:53], v[12:13]
	v_add_f64 v[12:13], v[48:49], v[46:47]
	v_cndmask_b32_e64 v13, v13, v43, s[0:1]
	v_xor_b32_e32 v39, v39, v45
	v_cndmask_b32_e64 v12, v12, v42, s[0:1]
	v_bitop3_b32 v13, v13, v39, s24 bitop3:0x78
	v_cndmask_b32_e32 v42, 0, v12, vcc
	v_cndmask_b32_e32 v43, v38, v13, vcc
	;; [unrolled: 1-line block ×4, first 2 shown]
	v_mul_f64 v[12:13], v[22:23], v[42:43]
	v_fmac_f64_e32 v[12:13], v[14:15], v[20:21]
	v_mul_f64 v[14:15], v[14:15], v[42:43]
	v_fma_f64 v[14:15], v[22:23], v[20:21], -v[14:15]
	scratch_load_dword v52, off, off offset:20 ; 4-byte Folded Reload
	v_add_f64 v[20:21], v[16:17], -v[18:19]
	s_waitcnt vmcnt(1)
	v_mul_f64 v[22:23], v[34:35], v[34:35]
	v_mul_f64 v[42:43], v[22:23], 0.5
	v_add_f64 v[44:45], -v[42:43], 1.0
	v_add_f64 v[50:51], -v[44:45], 1.0
	v_add_f64 v[42:43], v[50:51], -v[42:43]
	scratch_load_dwordx2 v[50:51], off, off offset:28 ; 8-byte Folded Reload
	v_fma_f64 v[48:49], s[4:5], v[22:23], v[24:25]
	v_fma_f64 v[48:49], v[22:23], v[48:49], s[6:7]
	;; [unrolled: 1-line block ×4, first 2 shown]
	v_mul_f64 v[46:47], v[22:23], v[22:23]
	v_fma_f64 v[48:49], v[22:23], v[48:49], s[12:13]
	s_waitcnt vmcnt(1)
	v_and_b32_e32 v39, 1, v52
	v_cmp_eq_u32_e32 vcc, 0, v39
	v_lshlrev_b32_e32 v36, 30, v52
	v_and_b32_e32 v39, 1, v126
	s_waitcnt vmcnt(0)
	v_fma_f64 v[42:43], v[34:35], -v[50:51], v[42:43]
	v_fmac_f64_e32 v[42:43], v[46:47], v[48:49]
	v_fma_f64 v[46:47], s[14:15], v[22:23], v[26:27]
	v_fma_f64 v[46:47], v[22:23], v[46:47], s[16:17]
	;; [unrolled: 1-line block ×3, first 2 shown]
	v_add_f64 v[42:43], v[44:45], v[42:43]
	v_mul_f64 v[44:45], v[34:35], -v[22:23]
	v_fma_f64 v[46:47], v[22:23], v[46:47], s[20:21]
	v_mul_f64 v[48:49], v[50:51], 0.5
	v_fmac_f64_e32 v[48:49], v[44:45], v[46:47]
	v_fma_f64 v[22:23], v[22:23], v[48:49], -v[50:51]
	v_fmac_f64_e32 v[22:23], s[22:23], v[44:45]
	v_add_f64 v[22:23], v[34:35], -v[22:23]
	scratch_load_dword v34, off, off offset:52 ; 4-byte Folded Reload
	scratch_load_dwordx2 v[50:51], off, off offset:84 ; 8-byte Folded Reload
	v_xor_b32_e32 v23, 0x80000000, v23
	v_cndmask_b32_e32 v22, v22, v42, vcc
	v_cndmask_b32_e32 v23, v23, v43, vcc
	v_fma_f64 v[42:43], s[14:15], v[10:11], v[26:27]
	v_fma_f64 v[42:43], v[10:11], v[42:43], s[16:17]
	;; [unrolled: 1-line block ×3, first 2 shown]
	v_bitop3_b32 v23, v23, v36, s24 bitop3:0x78
	v_mul_f64 v[36:37], v[40:41], -v[10:11]
	v_fma_f64 v[42:43], v[10:11], v[42:43], s[20:21]
	v_fma_f64 v[48:49], s[4:5], v[10:11], v[24:25]
	;; [unrolled: 1-line block ×5, first 2 shown]
	v_mul_f64 v[46:47], v[10:11], v[10:11]
	v_cmp_class_f64_e64 vcc, v[32:33], s25
	ds_write2_b64 v121, v[4:5], v[68:69] offset1:72
	ds_write2_b64 v121, v[14:15], v[30:31] offset0:144 offset1:216
	v_cndmask_b32_e32 v22, 0, v22, vcc
	v_cndmask_b32_e32 v23, v38, v23, vcc
	s_waitcnt vmcnt(1)
	v_and_b32_e32 v32, 1, v34
	s_waitcnt vmcnt(0)
	v_mul_f64 v[44:45], v[50:51], 0.5
	v_fmac_f64_e32 v[44:45], v[36:37], v[42:43]
	v_fma_f64 v[42:43], v[10:11], v[44:45], -v[50:51]
	v_fmac_f64_e32 v[42:43], s[22:23], v[36:37]
	v_add_f64 v[36:37], v[40:41], -v[42:43]
	v_mul_f64 v[42:43], v[10:11], 0.5
	v_add_f64 v[44:45], -v[42:43], 1.0
	v_fma_f64 v[10:11], v[10:11], v[48:49], s[12:13]
	v_add_f64 v[48:49], -v[44:45], 1.0
	v_add_f64 v[42:43], v[48:49], -v[42:43]
	v_fma_f64 v[40:41], v[40:41], -v[50:51], v[42:43]
	v_fmac_f64_e32 v[40:41], v[46:47], v[10:11]
	v_add_f64 v[10:11], v[44:45], v[40:41]
	v_cmp_eq_u32_e64 s[0:1], 0, v32
	v_lshlrev_b32_e32 v32, 30, v34
	v_xor_b32_e32 v32, v32, v33
	v_cndmask_b32_e64 v11, v11, v37, s[0:1]
	v_cndmask_b32_e64 v10, v10, v36, s[0:1]
	v_bitop3_b32 v11, v11, v32, s24 bitop3:0x78
	v_cndmask_b32_e32 v10, 0, v10, vcc
	v_cndmask_b32_e32 v11, v38, v11, vcc
	v_mul_f64 v[32:33], v[8:9], v[10:11]
	v_mul_f64 v[10:11], v[20:21], v[10:11]
	v_fmac_f64_e32 v[32:33], v[20:21], v[22:23]
	v_fma_f64 v[8:9], v[8:9], v[22:23], -v[10:11]
	v_add_f64 v[22:23], v[16:17], v[18:19]
	v_mul_f64 v[16:17], v[6:7], 0.5
	v_fma_f64 v[40:41], s[4:5], v[6:7], v[24:25]
	v_add_f64 v[18:19], -v[16:17], 1.0
	v_fma_f64 v[40:41], v[6:7], v[40:41], s[6:7]
	v_fma_f64 v[40:41], v[6:7], v[40:41], s[8:9]
	v_add_f64 v[42:43], -v[18:19], 1.0
	v_fma_f64 v[40:41], v[6:7], v[40:41], s[10:11]
	v_add_f64 v[16:17], v[42:43], -v[16:17]
	v_mul_f64 v[36:37], v[6:7], v[6:7]
	v_fma_f64 v[40:41], v[6:7], v[40:41], s[12:13]
	v_fma_f64 v[16:17], v[94:95], -v[96:97], v[16:17]
	v_fmac_f64_e32 v[16:17], v[36:37], v[40:41]
	v_fma_f64 v[36:37], s[14:15], v[6:7], v[26:27]
	v_fma_f64 v[36:37], v[6:7], v[36:37], s[16:17]
	;; [unrolled: 1-line block ×3, first 2 shown]
	v_add_f64 v[16:17], v[18:19], v[16:17]
	v_mul_f64 v[18:19], v[94:95], -v[6:7]
	v_fma_f64 v[36:37], v[6:7], v[36:37], s[20:21]
	v_mul_f64 v[40:41], v[96:97], 0.5
	v_fmac_f64_e32 v[40:41], v[18:19], v[36:37]
	v_fma_f64 v[6:7], v[6:7], v[40:41], -v[96:97]
	v_fmac_f64_e32 v[6:7], s[22:23], v[18:19]
	v_add_f64 v[6:7], v[94:95], -v[6:7]
	v_xor_b32_e32 v7, 0x80000000, v7
	v_cmp_eq_u32_e32 vcc, 0, v39
	v_add_f64 v[20:21], v[108:109], -v[104:105]
	v_add_f64 v[10:11], v[98:99], -v[106:107]
	v_cndmask_b32_e32 v6, v6, v16, vcc
	v_cndmask_b32_e32 v7, v7, v17, vcc
	v_lshlrev_b32_e32 v16, 30, v126
	v_bitop3_b32 v7, v7, v16, s24 bitop3:0x78
	v_mul_f64 v[16:17], v[100:101], v[100:101]
	v_mul_f64 v[18:19], v[16:17], 0.5
	v_fmac_f64_e32 v[24:25], s[4:5], v[16:17]
	v_add_f64 v[36:37], -v[18:19], 1.0
	v_fma_f64 v[24:25], v[16:17], v[24:25], s[6:7]
	v_add_f64 v[40:41], -v[36:37], 1.0
	v_fma_f64 v[24:25], v[16:17], v[24:25], s[8:9]
	v_add_f64 v[18:19], v[40:41], -v[18:19]
	v_fma_f64 v[24:25], v[16:17], v[24:25], s[10:11]
	v_mul_f64 v[40:41], v[16:17], v[16:17]
	v_fma_f64 v[24:25], v[16:17], v[24:25], s[12:13]
	v_fma_f64 v[18:19], v[100:101], -v[102:103], v[18:19]
	v_fmac_f64_e32 v[26:27], s[14:15], v[16:17]
	v_fmac_f64_e32 v[18:19], v[40:41], v[24:25]
	v_fma_f64 v[24:25], v[16:17], v[26:27], s[16:17]
	v_fma_f64 v[24:25], v[16:17], v[24:25], s[18:19]
	v_add_f64 v[18:19], v[36:37], v[18:19]
	v_fma_f64 v[24:25], v[16:17], v[24:25], s[20:21]
	v_mul_f64 v[26:27], v[100:101], -v[16:17]
	v_mul_f64 v[36:37], v[102:103], 0.5
	v_fmac_f64_e32 v[36:37], v[26:27], v[24:25]
	v_fma_f64 v[16:17], v[16:17], v[36:37], -v[102:103]
	v_fmac_f64_e32 v[16:17], s[22:23], v[26:27]
	v_and_b32_e32 v24, 1, v127
	v_add_f64 v[16:17], v[100:101], -v[16:17]
	v_cmp_eq_u32_e64 s[0:1], 0, v24
	v_cmp_class_f64_e64 vcc, v[66:67], s25
	s_nop 0
	v_cndmask_b32_e64 v16, v18, v16, s[0:1]
	v_lshlrev_b32_e32 v18, 30, v127
	v_cndmask_b32_e64 v17, v19, v17, s[0:1]
	v_xor_b32_e32 v18, v18, v67
	v_bitop3_b32 v17, v17, v18, s24 bitop3:0x78
	v_cndmask_b32_e32 v16, 0, v16, vcc
	v_cndmask_b32_e32 v17, v38, v17, vcc
	;; [unrolled: 1-line block ×4, first 2 shown]
	v_mul_f64 v[24:25], v[20:21], v[16:17]
	v_mul_f64 v[18:19], v[10:11], v[16:17]
	v_fmac_f64_e32 v[24:25], v[10:11], v[6:7]
	v_add_u32_e32 v10, 0x800, v121
	v_fma_f64 v[18:19], v[20:21], v[6:7], -v[18:19]
	ds_write2_b64 v10, v[8:9], v[78:79] offset0:32 offset1:104
	ds_write2_b64 v10, v[2:3], v[18:19] offset0:176 offset1:248
	s_waitcnt lgkmcnt(0)
	s_barrier
	scratch_load_dword v2, off, off offset:8 ; 4-byte Folded Reload
	scratch_load_dword v3, off, off offset:12 ; 4-byte Folded Reload
	s_waitcnt vmcnt(1)
	v_mul_u32_u24_e32 v2, 0x240, v2
	s_waitcnt vmcnt(0)
	v_lshl_or_b32 v30, v3, 3, v2
	ds_read2_b64 v[2:5], v30 offset1:8
	ds_read2_b64 v[6:9], v30 offset0:16 offset1:24
	ds_read2_b64 v[14:17], v30 offset0:32 offset1:40
	ds_read2_b64 v[18:21], v30 offset0:48 offset1:56
	s_waitcnt lgkmcnt(0)
	s_barrier
	ds_write2_b64 v121, v[22:23], v[64:65] offset1:72
	ds_write2_b64 v121, v[12:13], v[28:29] offset0:144 offset1:216
	ds_write2_b64 v10, v[32:33], v[76:77] offset0:32 offset1:104
	;; [unrolled: 1-line block ×3, first 2 shown]
	s_waitcnt lgkmcnt(0)
	s_barrier
	ds_read2_b64 v[10:13], v30 offset1:8
	ds_read2_b64 v[22:25], v30 offset0:32 offset1:40
	ds_read2_b64 v[26:29], v30 offset0:16 offset1:24
	;; [unrolled: 1-line block ×3, first 2 shown]
	v_add_f64 v[0:1], v[2:3], v[14:15]
	v_add_f64 v[38:39], v[2:3], -v[14:15]
	s_waitcnt lgkmcnt(2)
	v_add_f64 v[36:37], v[10:11], v[22:23]
	v_add_f64 v[22:23], v[10:11], -v[22:23]
	v_add_f64 v[2:3], v[4:5], v[16:17]
	v_add_f64 v[10:11], v[12:13], v[24:25]
	v_add_f64 v[4:5], v[4:5], -v[16:17]
	v_add_f64 v[12:13], v[12:13], -v[24:25]
	v_add_f64 v[24:25], v[8:9], v[20:21]
	v_add_f64 v[8:9], v[8:9], -v[20:21]
	s_waitcnt lgkmcnt(0)
	v_add_f64 v[20:21], v[28:29], -v[32:33]
	v_add_f64 v[14:15], v[6:7], v[18:19]
	v_add_f64 v[16:17], v[26:27], v[30:31]
	v_add_f64 v[6:7], v[6:7], -v[18:19]
	v_add_f64 v[18:19], v[26:27], -v[30:31]
	v_add_f64 v[26:27], v[28:29], v[32:33]
	v_add_f64 v[28:29], v[4:5], v[12:13]
	v_add_f64 v[30:31], v[12:13], -v[4:5]
	v_add_f64 v[4:5], v[20:21], -v[8:9]
	v_fma_f64 v[32:33], 0, v[6:7], v[18:19]
	v_fma_f64 v[18:19], v[18:19], 0, -v[6:7]
	v_add_f64 v[6:7], -v[20:21], -v[8:9]
	v_mul_f64 v[20:21], v[4:5], s[2:3]
	v_add_f64 v[4:5], v[0:1], v[14:15]
	v_add_f64 v[12:13], v[0:1], -v[14:15]
	v_add_f64 v[8:9], v[2:3], v[24:25]
	v_add_f64 v[0:1], v[2:3], -v[24:25]
	v_add_f64 v[2:3], v[10:11], -v[26:27]
	v_mul_f64 v[40:41], v[6:7], s[2:3]
	v_add_f64 v[6:7], v[36:37], v[16:17]
	v_add_f64 v[14:15], v[36:37], -v[16:17]
	v_add_f64 v[16:17], v[10:11], v[26:27]
	v_fma_f64 v[26:27], v[2:3], 0, -v[0:1]
	v_fma_f64 v[24:25], 0, v[0:1], v[2:3]
	v_add_f64 v[2:3], v[6:7], v[16:17]
	v_add_f64 v[6:7], v[6:7], -v[16:17]
	v_add_f64 v[10:11], v[14:15], v[26:27]
	v_add_f64 v[14:15], v[14:15], -v[26:27]
	;; [unrolled: 2-line block ×3, first 2 shown]
	v_fma_f64 v[16:17], v[28:29], s[2:3], -v[20:21]
	v_fma_f64 v[18:19], v[30:31], s[2:3], -v[40:41]
	v_add_f64 v[0:1], v[4:5], v[8:9]
	v_add_f64 v[4:5], v[4:5], -v[8:9]
	v_add_f64 v[8:9], v[12:13], v[24:25]
	v_add_f64 v[12:13], v[12:13], -v[24:25]
	;; [unrolled: 2-line block ×3, first 2 shown]
	v_fma_f64 v[22:23], s[2:3], v[28:29], v[20:21]
	v_fma_f64 v[28:29], 0, v[16:17], v[18:19]
	;; [unrolled: 1-line block ×3, first 2 shown]
	v_fma_f64 v[30:31], v[18:19], 0, -v[16:17]
	v_add_f64 v[16:17], v[24:25], v[22:23]
	v_add_f64 v[20:21], v[24:25], -v[22:23]
	v_add_f64 v[24:25], v[32:33], v[28:29]
	v_add_f64 v[28:29], v[32:33], -v[28:29]
	scratch_load_dwordx2 v[32:33], off, off ; 8-byte Folded Reload
	v_add_f64 v[18:19], v[26:27], v[38:39]
	v_add_f64 v[22:23], v[26:27], -v[38:39]
	v_add_f64 v[26:27], v[36:37], v[30:31]
	s_waitcnt vmcnt(0)
	global_store_dwordx4 v[32:33], v[0:3], off
	global_store_dwordx4 v[32:33], v[16:19], off offset:1024
	global_store_dwordx4 v[32:33], v[8:11], off offset:2048
	;; [unrolled: 1-line block ×3, first 2 shown]
	scratch_load_dwordx2 v[0:1], off, off offset:200 ; 8-byte Folded Reload
	v_add_f64 v[30:31], v[36:37], -v[30:31]
	s_waitcnt vmcnt(0)
	global_store_dwordx4 v[0:1], v[4:7], off
	scratch_load_dwordx2 v[0:1], off, off offset:192 ; 8-byte Folded Reload
	s_waitcnt vmcnt(0)
	global_store_dwordx4 v[0:1], v[20:23], off
	scratch_load_dwordx2 v[0:1], off, off offset:176 ; 8-byte Folded Reload
	s_waitcnt vmcnt(0)
	global_store_dwordx4 v[0:1], v[12:15], off
	scratch_load_dwordx2 v[0:1], off, off offset:184 ; 8-byte Folded Reload
	s_waitcnt vmcnt(0)
	global_store_dwordx4 v[0:1], v[28:31], off
	s_endpgm
	.section	.rodata,"a",@progbits
	.p2align	6, 0x0
	.amdhsa_kernel _Z9fft1D_512P15HIP_vector_typeIdLj2EE
		.amdhsa_group_segment_fixed_size 4608
		.amdhsa_private_segment_fixed_size 212
		.amdhsa_kernarg_size 8
		.amdhsa_user_sgpr_count 2
		.amdhsa_user_sgpr_dispatch_ptr 0
		.amdhsa_user_sgpr_queue_ptr 0
		.amdhsa_user_sgpr_kernarg_segment_ptr 1
		.amdhsa_user_sgpr_dispatch_id 0
		.amdhsa_user_sgpr_kernarg_preload_length 0
		.amdhsa_user_sgpr_kernarg_preload_offset 0
		.amdhsa_user_sgpr_private_segment_size 0
		.amdhsa_uses_dynamic_stack 0
		.amdhsa_enable_private_segment 1
		.amdhsa_system_sgpr_workgroup_id_x 1
		.amdhsa_system_sgpr_workgroup_id_y 0
		.amdhsa_system_sgpr_workgroup_id_z 0
		.amdhsa_system_sgpr_workgroup_info 0
		.amdhsa_system_vgpr_workitem_id 0
		.amdhsa_next_free_vgpr 128
		.amdhsa_next_free_sgpr 26
		.amdhsa_accum_offset 128
		.amdhsa_reserve_vcc 1
		.amdhsa_float_round_mode_32 0
		.amdhsa_float_round_mode_16_64 0
		.amdhsa_float_denorm_mode_32 3
		.amdhsa_float_denorm_mode_16_64 3
		.amdhsa_dx10_clamp 1
		.amdhsa_ieee_mode 1
		.amdhsa_fp16_overflow 0
		.amdhsa_tg_split 0
		.amdhsa_exception_fp_ieee_invalid_op 0
		.amdhsa_exception_fp_denorm_src 0
		.amdhsa_exception_fp_ieee_div_zero 0
		.amdhsa_exception_fp_ieee_overflow 0
		.amdhsa_exception_fp_ieee_underflow 0
		.amdhsa_exception_fp_ieee_inexact 0
		.amdhsa_exception_int_div_zero 0
	.end_amdhsa_kernel
	.text
.Lfunc_end0:
	.size	_Z9fft1D_512P15HIP_vector_typeIdLj2EE, .Lfunc_end0-_Z9fft1D_512P15HIP_vector_typeIdLj2EE
                                        ; -- End function
	.set _Z9fft1D_512P15HIP_vector_typeIdLj2EE.num_vgpr, 128
	.set _Z9fft1D_512P15HIP_vector_typeIdLj2EE.num_agpr, 0
	.set _Z9fft1D_512P15HIP_vector_typeIdLj2EE.numbered_sgpr, 26
	.set _Z9fft1D_512P15HIP_vector_typeIdLj2EE.num_named_barrier, 0
	.set _Z9fft1D_512P15HIP_vector_typeIdLj2EE.private_seg_size, 212
	.set _Z9fft1D_512P15HIP_vector_typeIdLj2EE.uses_vcc, 1
	.set _Z9fft1D_512P15HIP_vector_typeIdLj2EE.uses_flat_scratch, 0
	.set _Z9fft1D_512P15HIP_vector_typeIdLj2EE.has_dyn_sized_stack, 0
	.set _Z9fft1D_512P15HIP_vector_typeIdLj2EE.has_recursion, 0
	.set _Z9fft1D_512P15HIP_vector_typeIdLj2EE.has_indirect_call, 0
	.section	.AMDGPU.csdata,"",@progbits
; Kernel info:
; codeLenInByte = 34376
; TotalNumSgprs: 32
; NumVgprs: 128
; NumAgprs: 0
; TotalNumVgprs: 128
; ScratchSize: 212
; MemoryBound: 0
; FloatMode: 240
; IeeeMode: 1
; LDSByteSize: 4608 bytes/workgroup (compile time only)
; SGPRBlocks: 3
; VGPRBlocks: 15
; NumSGPRsForWavesPerEU: 32
; NumVGPRsForWavesPerEU: 128
; AccumOffset: 128
; Occupancy: 4
; WaveLimiterHint : 1
; COMPUTE_PGM_RSRC2:SCRATCH_EN: 1
; COMPUTE_PGM_RSRC2:USER_SGPR: 2
; COMPUTE_PGM_RSRC2:TRAP_HANDLER: 0
; COMPUTE_PGM_RSRC2:TGID_X_EN: 1
; COMPUTE_PGM_RSRC2:TGID_Y_EN: 0
; COMPUTE_PGM_RSRC2:TGID_Z_EN: 0
; COMPUTE_PGM_RSRC2:TIDIG_COMP_CNT: 0
; COMPUTE_PGM_RSRC3_GFX90A:ACCUM_OFFSET: 31
; COMPUTE_PGM_RSRC3_GFX90A:TG_SPLIT: 0
	.text
	.protected	_Z10ifft1D_512P15HIP_vector_typeIdLj2EE ; -- Begin function _Z10ifft1D_512P15HIP_vector_typeIdLj2EE
	.globl	_Z10ifft1D_512P15HIP_vector_typeIdLj2EE
	.p2align	8
	.type	_Z10ifft1D_512P15HIP_vector_typeIdLj2EE,@function
_Z10ifft1D_512P15HIP_vector_typeIdLj2EE: ; @_Z10ifft1D_512P15HIP_vector_typeIdLj2EE
; %bb.0:
	s_load_dwordx2 s[0:1], s[0:1], 0x0
	v_lshl_add_u32 v2, s2, 9, v0
	v_ashrrev_i32_e32 v3, 31, v2
	v_cvt_f64_u32_e32 v[62:63], v0
	s_mov_b32 s5, 0x3fa921fb
	s_waitcnt lgkmcnt(0)
	v_lshl_add_u64 v[2:3], v[2:3], 4, s[0:1]
	v_add_co_u32_e32 v36, vcc, 0x1000, v2
	global_load_dwordx4 v[24:27], v[2:3], off
	global_load_dwordx4 v[16:19], v[2:3], off offset:1024
	global_load_dwordx4 v[12:15], v[2:3], off offset:2048
	;; [unrolled: 1-line block ×3, first 2 shown]
	v_addc_co_u32_e32 v37, vcc, 0, v3, vcc
	scratch_store_dwordx2 off, v[2:3], off  ; 8-byte Folded Spill
	global_load_dwordx4 v[28:31], v[36:37], off
	global_load_dwordx4 v[124:127], v[36:37], off offset:1024
	s_nop 0
	global_load_dwordx4 v[2:5], v[36:37], off offset:2048
	global_load_dwordx4 v[32:35], v[36:37], off offset:3072
	s_mov_b32 s4, 0x54442d18
	s_mov_b32 s0, 0
                                        ; kill: killed $vgpr36 killed $vgpr37
	v_mul_f64 v[36:37], v[62:63], s[4:5]
	s_mov_b32 s1, 0x41d00000
	v_cmp_ngt_f64_e32 vcc, s[0:1], v[36:37]
	v_trig_preop_f64 v[50:51], v[36:37], 0
	v_trig_preop_f64 v[48:49], v[36:37], 1
	v_trig_preop_f64 v[46:47], v[36:37], 2
                                        ; implicit-def: $vgpr1
                                        ; kill: killed $vgpr1
	s_waitcnt vmcnt(1)
	scratch_store_dwordx4 off, v[2:5], off offset:28 ; 16-byte Folded Spill
                                        ; implicit-def: $vgpr2_vgpr3
                                        ; kill: killed $vgpr2_vgpr3
                                        ; implicit-def: $vgpr2_vgpr3
                                        ; kill: killed $vgpr2_vgpr3
	s_and_saveexec_b64 s[0:1], vcc
	s_xor_b64 s[6:7], exec, s[0:1]
	s_cbranch_execz .LBB1_2
; %bb.1:
	s_mov_b32 s0, 0
	s_mov_b32 s1, 0x7b000000
	s_movk_i32 s2, 0xff80
	v_ldexp_f64 v[38:39], v[36:37], s2
	v_cmp_le_f64_e64 s[0:1], s[0:1], v[36:37]
	v_mov_b32_e32 v1, 0x40100000
	s_mov_b32 s5, 0x3ff921fb
	v_cndmask_b32_e64 v39, v37, v39, s[0:1]
	v_cndmask_b32_e64 v38, v36, v38, s[0:1]
	v_mul_f64 v[42:43], v[50:51], v[38:39]
	v_mul_f64 v[40:41], v[48:49], v[38:39]
	v_fma_f64 v[44:45], v[50:51], v[38:39], -v[42:43]
	v_add_f64 v[52:53], v[40:41], v[44:45]
	v_add_f64 v[60:61], v[52:53], -v[40:41]
	v_add_f64 v[44:45], v[44:45], -v[60:61]
	v_add_f64 v[60:61], v[52:53], -v[60:61]
	v_add_f64 v[60:61], v[40:41], -v[60:61]
	v_add_f64 v[44:45], v[44:45], v[60:61]
	v_fma_f64 v[40:41], v[48:49], v[38:39], -v[40:41]
	v_mul_f64 v[60:61], v[46:47], v[38:39]
	v_add_f64 v[64:65], v[60:61], v[40:41]
	v_add_f64 v[54:55], v[42:43], v[52:53]
	;; [unrolled: 1-line block ×3, first 2 shown]
	v_ldexp_f64 v[56:57], v[54:55], -2
	v_add_f64 v[42:43], v[54:55], -v[42:43]
	v_add_f64 v[54:55], v[66:67], -v[64:65]
	;; [unrolled: 1-line block ×5, first 2 shown]
	v_add_f64 v[44:45], v[44:45], v[54:55]
	v_add_f64 v[54:55], v[64:65], -v[60:61]
	v_add_f64 v[40:41], v[40:41], -v[54:55]
	;; [unrolled: 1-line block ×5, first 2 shown]
	v_add_f64 v[40:41], v[40:41], v[54:55]
	s_mov_b32 s0, 0
	v_fract_f64_e32 v[58:59], v[56:57]
	v_add_f64 v[52:53], v[42:43], v[66:67]
	v_add_f64 v[40:41], v[40:41], v[44:45]
	v_fma_f64 v[38:39], v[46:47], v[38:39], -v[60:61]
	s_mov_b32 s1, 0x7ff00000
	v_add_f64 v[42:43], v[52:53], -v[42:43]
	v_add_f64 v[38:39], v[38:39], v[40:41]
	v_ldexp_f64 v[40:41], v[58:59], 2
	v_cmp_neq_f64_e64 s[0:1], |v[56:57]|, s[0:1]
	v_add_f64 v[42:43], v[66:67], -v[42:43]
	v_add_f64 v[38:39], v[42:43], v[38:39]
	v_cndmask_b32_e64 v41, 0, v41, s[0:1]
	v_cndmask_b32_e64 v40, 0, v40, s[0:1]
	v_add_f64 v[42:43], v[52:53], v[40:41]
	v_cmp_gt_f64_e64 s[0:1], 0, v[42:43]
	v_mov_b32_e32 v42, 0
	s_nop 0
	v_cndmask_b32_e64 v43, 0, v1, s[0:1]
	v_add_f64 v[40:41], v[40:41], v[42:43]
	v_add_f64 v[44:45], v[52:53], v[40:41]
	v_cvt_i32_f64_e32 v1, v[44:45]
	v_cvt_f64_i32_e32 v[44:45], v1
	v_add_f64 v[40:41], v[40:41], -v[44:45]
	v_add_f64 v[44:45], v[52:53], v[40:41]
	v_cmp_le_f64_e64 s[0:1], 0.5, v[44:45]
	v_add_f64 v[40:41], v[44:45], -v[40:41]
	v_add_f64 v[40:41], v[52:53], -v[40:41]
	v_addc_co_u32_e64 v1, s[2:3], 0, v1, s[0:1]
	scratch_store_dword off, v1, off offset:8 ; 4-byte Folded Spill
	v_mov_b32_e32 v1, 0x3ff00000
	v_cndmask_b32_e64 v43, 0, v1, s[0:1]
	v_add_f64 v[38:39], v[38:39], v[40:41]
	v_add_f64 v[40:41], v[44:45], -v[42:43]
	v_add_f64 v[42:43], v[40:41], v[38:39]
	v_add_f64 v[40:41], v[42:43], -v[40:41]
	v_add_f64 v[38:39], v[38:39], -v[40:41]
	v_mul_f64 v[40:41], v[42:43], s[4:5]
	s_mov_b32 s0, 0x33145c07
	v_fma_f64 v[44:45], v[42:43], s[4:5], -v[40:41]
	s_mov_b32 s1, 0x3c91a626
	v_fmac_f64_e32 v[44:45], s[0:1], v[42:43]
	v_fmac_f64_e32 v[44:45], s[4:5], v[38:39]
	v_add_f64 v[2:3], v[40:41], v[44:45]
	v_add_f64 v[40:41], v[2:3], -v[40:41]
	scratch_store_dwordx2 off, v[2:3], off offset:20 ; 8-byte Folded Spill
	v_add_f64 v[2:3], v[44:45], -v[40:41]
	scratch_store_dwordx2 off, v[2:3], off offset:12 ; 8-byte Folded Spill
	s_andn2_saveexec_b64 s[0:1], s[6:7]
	s_cbranch_execz .LBB1_4
	s_branch .LBB1_3
.LBB1_2:
	s_andn2_saveexec_b64 s[0:1], s[6:7]
	s_cbranch_execz .LBB1_4
.LBB1_3:
	s_mov_b32 s2, 0x6dc9c883
	s_mov_b32 s3, 0x3fe45f30
	v_mul_f64 v[38:39], v[36:37], s[2:3]
	s_mov_b32 s2, 0x54442d18
	v_rndne_f64_e32 v[40:41], v[38:39]
	s_mov_b32 s3, 0xbff921fb
	v_fma_f64 v[38:39], s[2:3], v[40:41], v[36:37]
	s_mov_b32 s3, 0xbc91a626
	s_mov_b32 s2, 0x33145c00
	v_mul_f64 v[44:45], v[40:41], s[2:3]
	v_add_f64 v[54:55], v[38:39], v[44:45]
	v_fma_f64 v[42:43], s[2:3], v[40:41], v[38:39]
	s_mov_b32 s3, 0x3c91a626
	v_add_f64 v[38:39], v[38:39], -v[54:55]
	v_fma_f64 v[52:53], s[2:3], v[40:41], v[44:45]
	v_add_f64 v[38:39], v[38:39], v[44:45]
	v_add_f64 v[44:45], v[54:55], -v[42:43]
	v_add_f64 v[38:39], v[44:45], v[38:39]
	s_mov_b32 s2, 0x252049c0
	v_add_f64 v[44:45], v[38:39], -v[52:53]
	s_mov_b32 s3, 0xb97b839a
	v_fmac_f64_e32 v[44:45], s[2:3], v[40:41]
	v_add_f64 v[2:3], v[42:43], v[44:45]
	v_add_f64 v[42:43], v[2:3], -v[42:43]
	scratch_store_dwordx2 off, v[2:3], off offset:20 ; 8-byte Folded Spill
	v_add_f64 v[2:3], v[44:45], -v[42:43]
	v_cvt_i32_f64_e32 v1, v[40:41]
	scratch_store_dwordx2 off, v[2:3], off offset:12 ; 8-byte Folded Spill
	scratch_store_dword off, v1, off offset:8 ; 4-byte Folded Spill
.LBB1_4:
	s_or_b64 exec, exec, s[0:1]
                                        ; implicit-def: $vgpr2_vgpr3
                                        ; implicit-def: $vgpr1
                                        ; kill: killed $vgpr1
                                        ; kill: killed $vgpr2_vgpr3
                                        ; implicit-def: $vgpr2_vgpr3
                                        ; kill: killed $vgpr2_vgpr3
	s_and_saveexec_b64 s[0:1], vcc
	s_xor_b64 s[2:3], exec, s[0:1]
	s_cbranch_execz .LBB1_6
; %bb.5:
	s_mov_b32 s0, 0
	s_mov_b32 s1, 0x7b000000
	s_movk_i32 s4, 0xff80
	v_ldexp_f64 v[40:41], v[36:37], s4
	v_cmp_le_f64_e32 vcc, s[0:1], v[36:37]
	s_mov_b32 s0, 0
	s_mov_b32 s1, 0x7ff00000
	v_cndmask_b32_e32 v41, v37, v41, vcc
	v_cndmask_b32_e32 v40, v36, v40, vcc
	v_mul_f64 v[44:45], v[50:51], v[40:41]
	v_mul_f64 v[42:43], v[48:49], v[40:41]
	v_fma_f64 v[50:51], v[50:51], v[40:41], -v[44:45]
	v_add_f64 v[52:53], v[42:43], v[50:51]
	v_add_f64 v[60:61], v[52:53], -v[42:43]
	v_add_f64 v[50:51], v[50:51], -v[60:61]
	;; [unrolled: 1-line block ×4, first 2 shown]
	v_fma_f64 v[42:43], v[48:49], v[40:41], -v[42:43]
	v_mul_f64 v[48:49], v[46:47], v[40:41]
	v_add_f64 v[50:51], v[50:51], v[60:61]
	v_add_f64 v[60:61], v[48:49], v[42:43]
	;; [unrolled: 1-line block ×4, first 2 shown]
	v_ldexp_f64 v[56:57], v[54:55], -2
	v_add_f64 v[44:45], v[54:55], -v[44:45]
	v_add_f64 v[54:55], v[64:65], -v[60:61]
	;; [unrolled: 1-line block ×5, first 2 shown]
	v_add_f64 v[50:51], v[50:51], v[54:55]
	v_add_f64 v[54:55], v[60:61], -v[48:49]
	v_add_f64 v[42:43], v[42:43], -v[54:55]
	;; [unrolled: 1-line block ×5, first 2 shown]
	v_add_f64 v[42:43], v[42:43], v[54:55]
	v_fract_f64_e32 v[58:59], v[56:57]
	v_add_f64 v[52:53], v[44:45], v[64:65]
	v_add_f64 v[42:43], v[42:43], v[50:51]
	v_fma_f64 v[40:41], v[46:47], v[40:41], -v[48:49]
	v_add_f64 v[44:45], v[52:53], -v[44:45]
	v_add_f64 v[40:41], v[40:41], v[42:43]
	v_ldexp_f64 v[42:43], v[58:59], 2
	v_cmp_neq_f64_e64 vcc, |v[56:57]|, s[0:1]
	v_add_f64 v[44:45], v[64:65], -v[44:45]
	v_add_f64 v[40:41], v[44:45], v[40:41]
	v_cndmask_b32_e32 v43, 0, v43, vcc
	v_cndmask_b32_e32 v42, 0, v42, vcc
	v_add_f64 v[44:45], v[52:53], v[42:43]
	v_mov_b32_e32 v1, 0x40100000
	v_cmp_gt_f64_e32 vcc, 0, v[44:45]
	v_mov_b32_e32 v44, 0
	s_mov_b32 s4, 0x33145c07
	v_cndmask_b32_e32 v45, 0, v1, vcc
	v_add_f64 v[42:43], v[42:43], v[44:45]
	v_add_f64 v[46:47], v[52:53], v[42:43]
	v_cvt_i32_f64_e32 v1, v[46:47]
	v_cvt_f64_i32_e32 v[46:47], v1
	v_add_f64 v[42:43], v[42:43], -v[46:47]
	v_add_f64 v[46:47], v[52:53], v[42:43]
	v_cmp_le_f64_e32 vcc, 0.5, v[46:47]
	v_add_f64 v[42:43], v[46:47], -v[42:43]
	v_add_f64 v[42:43], v[52:53], -v[42:43]
	v_addc_co_u32_e64 v1, s[0:1], 0, v1, vcc
	scratch_store_dword off, v1, off offset:44 ; 4-byte Folded Spill
	v_mov_b32_e32 v1, 0x3ff00000
	v_cndmask_b32_e32 v45, 0, v1, vcc
	v_add_f64 v[40:41], v[40:41], v[42:43]
	v_add_f64 v[42:43], v[46:47], -v[44:45]
	s_mov_b32 s0, 0x54442d18
	v_add_f64 v[44:45], v[42:43], v[40:41]
	s_mov_b32 s1, 0x3ff921fb
	v_mul_f64 v[46:47], v[44:45], s[0:1]
	v_add_f64 v[42:43], v[44:45], -v[42:43]
	v_fma_f64 v[48:49], v[44:45], s[0:1], -v[46:47]
	s_mov_b32 s5, 0x3c91a626
	v_add_f64 v[40:41], v[40:41], -v[42:43]
	v_fmac_f64_e32 v[48:49], s[4:5], v[44:45]
	v_fmac_f64_e32 v[48:49], s[0:1], v[40:41]
	v_add_f64 v[2:3], v[46:47], v[48:49]
	v_add_f64 v[40:41], v[2:3], -v[46:47]
	scratch_store_dwordx2 off, v[2:3], off offset:52 ; 8-byte Folded Spill
	v_add_f64 v[2:3], v[48:49], -v[40:41]
	scratch_store_dwordx2 off, v[2:3], off offset:60 ; 8-byte Folded Spill
	s_andn2_saveexec_b64 s[0:1], s[2:3]
	s_cbranch_execnz .LBB1_7
	s_branch .LBB1_8
.LBB1_6:
	s_andn2_saveexec_b64 s[0:1], s[2:3]
	s_cbranch_execz .LBB1_8
.LBB1_7:
	s_mov_b32 s2, 0x6dc9c883
	s_mov_b32 s3, 0x3fe45f30
	v_mul_f64 v[40:41], v[36:37], s[2:3]
	s_mov_b32 s2, 0x54442d18
	v_rndne_f64_e32 v[40:41], v[40:41]
	s_mov_b32 s3, 0xbff921fb
	v_fma_f64 v[42:43], s[2:3], v[40:41], v[36:37]
	s_mov_b32 s3, 0xbc91a626
	s_mov_b32 s2, 0x33145c00
	v_mul_f64 v[46:47], v[40:41], s[2:3]
	v_add_f64 v[50:51], v[42:43], v[46:47]
	v_fma_f64 v[44:45], s[2:3], v[40:41], v[42:43]
	s_mov_b32 s3, 0x3c91a626
	v_add_f64 v[42:43], v[42:43], -v[50:51]
	v_fma_f64 v[48:49], s[2:3], v[40:41], v[46:47]
	v_add_f64 v[42:43], v[42:43], v[46:47]
	v_add_f64 v[46:47], v[50:51], -v[44:45]
	v_add_f64 v[42:43], v[46:47], v[42:43]
	s_mov_b32 s2, 0x252049c0
	v_add_f64 v[46:47], v[42:43], -v[48:49]
	s_mov_b32 s3, 0xb97b839a
	v_fmac_f64_e32 v[46:47], s[2:3], v[40:41]
	v_add_f64 v[2:3], v[44:45], v[46:47]
	v_add_f64 v[44:45], v[2:3], -v[44:45]
	scratch_store_dwordx2 off, v[2:3], off offset:52 ; 8-byte Folded Spill
	v_add_f64 v[2:3], v[46:47], -v[44:45]
	v_cvt_i32_f64_e32 v1, v[40:41]
	scratch_store_dwordx2 off, v[2:3], off offset:60 ; 8-byte Folded Spill
	scratch_store_dword off, v1, off offset:44 ; 4-byte Folded Spill
.LBB1_8:
	s_or_b64 exec, exec, s[0:1]
	s_mov_b32 s5, 0x3f9921fb
	s_mov_b32 s4, 0x54442d18
	;; [unrolled: 1-line block ×3, first 2 shown]
	v_mul_f64 v[46:47], v[62:63], s[4:5]
	s_mov_b32 s1, 0x41d00000
	v_cmp_ngt_f64_e32 vcc, s[0:1], v[46:47]
	v_trig_preop_f64 v[60:61], v[46:47], 0
	v_trig_preop_f64 v[58:59], v[46:47], 1
	;; [unrolled: 1-line block ×3, first 2 shown]
                                        ; implicit-def: $vgpr2_vgpr3
                                        ; implicit-def: $vgpr1
                                        ; kill: killed $vgpr1
                                        ; kill: killed $vgpr2_vgpr3
                                        ; implicit-def: $vgpr2_vgpr3
                                        ; kill: killed $vgpr2_vgpr3
	s_and_saveexec_b64 s[0:1], vcc
	s_xor_b64 s[6:7], exec, s[0:1]
	s_cbranch_execz .LBB1_10
; %bb.9:
	s_mov_b32 s0, 0
	s_mov_b32 s1, 0x7b000000
	s_movk_i32 s2, 0xff80
	v_ldexp_f64 v[40:41], v[46:47], s2
	v_cmp_le_f64_e64 s[0:1], s[0:1], v[46:47]
	v_mov_b32_e32 v1, 0x40100000
	s_mov_b32 s5, 0x3ff921fb
	v_cndmask_b32_e64 v41, v47, v41, s[0:1]
	v_cndmask_b32_e64 v40, v46, v40, s[0:1]
	v_mul_f64 v[48:49], v[60:61], v[40:41]
	v_mul_f64 v[44:45], v[58:59], v[40:41]
	v_fma_f64 v[50:51], v[60:61], v[40:41], -v[48:49]
	v_add_f64 v[52:53], v[44:45], v[50:51]
	v_add_f64 v[68:69], v[52:53], -v[44:45]
	v_add_f64 v[50:51], v[50:51], -v[68:69]
	v_add_f64 v[68:69], v[52:53], -v[68:69]
	v_add_f64 v[68:69], v[44:45], -v[68:69]
	v_add_f64 v[50:51], v[50:51], v[68:69]
	v_fma_f64 v[44:45], v[58:59], v[40:41], -v[44:45]
	v_mul_f64 v[68:69], v[56:57], v[40:41]
	v_add_f64 v[70:71], v[68:69], v[44:45]
	v_add_f64 v[54:55], v[48:49], v[52:53]
	;; [unrolled: 1-line block ×3, first 2 shown]
	v_ldexp_f64 v[64:65], v[54:55], -2
	v_add_f64 v[48:49], v[54:55], -v[48:49]
	v_add_f64 v[54:55], v[72:73], -v[70:71]
	;; [unrolled: 1-line block ×5, first 2 shown]
	v_add_f64 v[50:51], v[50:51], v[54:55]
	v_add_f64 v[54:55], v[70:71], -v[68:69]
	v_add_f64 v[44:45], v[44:45], -v[54:55]
	;; [unrolled: 1-line block ×5, first 2 shown]
	v_add_f64 v[44:45], v[44:45], v[54:55]
	s_mov_b32 s0, 0
	v_fract_f64_e32 v[66:67], v[64:65]
	v_add_f64 v[52:53], v[48:49], v[72:73]
	v_add_f64 v[44:45], v[44:45], v[50:51]
	v_fma_f64 v[40:41], v[56:57], v[40:41], -v[68:69]
	s_mov_b32 s1, 0x7ff00000
	v_add_f64 v[48:49], v[52:53], -v[48:49]
	v_add_f64 v[40:41], v[40:41], v[44:45]
	v_ldexp_f64 v[44:45], v[66:67], 2
	v_cmp_neq_f64_e64 s[0:1], |v[64:65]|, s[0:1]
	v_add_f64 v[48:49], v[72:73], -v[48:49]
	v_add_f64 v[40:41], v[48:49], v[40:41]
	v_cndmask_b32_e64 v45, 0, v45, s[0:1]
	v_cndmask_b32_e64 v44, 0, v44, s[0:1]
	v_add_f64 v[48:49], v[52:53], v[44:45]
	v_cmp_gt_f64_e64 s[0:1], 0, v[48:49]
	v_mov_b32_e32 v48, 0
	s_nop 0
	v_cndmask_b32_e64 v49, 0, v1, s[0:1]
	v_add_f64 v[44:45], v[44:45], v[48:49]
	v_add_f64 v[50:51], v[52:53], v[44:45]
	v_cvt_i32_f64_e32 v1, v[50:51]
	v_cvt_f64_i32_e32 v[50:51], v1
	v_add_f64 v[44:45], v[44:45], -v[50:51]
	v_add_f64 v[50:51], v[52:53], v[44:45]
	v_cmp_le_f64_e64 s[0:1], 0.5, v[50:51]
	v_add_f64 v[44:45], v[50:51], -v[44:45]
	v_add_f64 v[44:45], v[52:53], -v[44:45]
	v_addc_co_u32_e64 v1, s[2:3], 0, v1, s[0:1]
	scratch_store_dword off, v1, off offset:76 ; 4-byte Folded Spill
	v_mov_b32_e32 v1, 0x3ff00000
	v_cndmask_b32_e64 v49, 0, v1, s[0:1]
	v_add_f64 v[40:41], v[40:41], v[44:45]
	v_add_f64 v[44:45], v[50:51], -v[48:49]
	v_add_f64 v[48:49], v[44:45], v[40:41]
	v_add_f64 v[44:45], v[48:49], -v[44:45]
	v_add_f64 v[40:41], v[40:41], -v[44:45]
	v_mul_f64 v[44:45], v[48:49], s[4:5]
	s_mov_b32 s0, 0x33145c07
	v_fma_f64 v[50:51], v[48:49], s[4:5], -v[44:45]
	s_mov_b32 s1, 0x3c91a626
	v_fmac_f64_e32 v[50:51], s[0:1], v[48:49]
	v_fmac_f64_e32 v[50:51], s[4:5], v[40:41]
	v_add_f64 v[2:3], v[44:45], v[50:51]
	v_add_f64 v[40:41], v[2:3], -v[44:45]
	scratch_store_dwordx2 off, v[2:3], off offset:84 ; 8-byte Folded Spill
	v_add_f64 v[2:3], v[50:51], -v[40:41]
	scratch_store_dwordx2 off, v[2:3], off offset:92 ; 8-byte Folded Spill
	s_andn2_saveexec_b64 s[0:1], s[6:7]
	s_cbranch_execz .LBB1_12
	s_branch .LBB1_11
.LBB1_10:
	s_andn2_saveexec_b64 s[0:1], s[6:7]
	s_cbranch_execz .LBB1_12
.LBB1_11:
	s_mov_b32 s2, 0x6dc9c883
	s_mov_b32 s3, 0x3fe45f30
	v_mul_f64 v[40:41], v[46:47], s[2:3]
	s_mov_b32 s2, 0x54442d18
	v_rndne_f64_e32 v[40:41], v[40:41]
	s_mov_b32 s3, 0xbff921fb
	v_fma_f64 v[44:45], s[2:3], v[40:41], v[46:47]
	s_mov_b32 s3, 0xbc91a626
	s_mov_b32 s2, 0x33145c00
	v_mul_f64 v[48:49], v[40:41], s[2:3]
	v_add_f64 v[54:55], v[44:45], v[48:49]
	v_fma_f64 v[50:51], s[2:3], v[40:41], v[44:45]
	s_mov_b32 s3, 0x3c91a626
	v_add_f64 v[44:45], v[44:45], -v[54:55]
	v_fma_f64 v[52:53], s[2:3], v[40:41], v[48:49]
	v_add_f64 v[44:45], v[44:45], v[48:49]
	v_add_f64 v[48:49], v[54:55], -v[50:51]
	v_add_f64 v[44:45], v[48:49], v[44:45]
	s_mov_b32 s2, 0x252049c0
	v_add_f64 v[44:45], v[44:45], -v[52:53]
	s_mov_b32 s3, 0xb97b839a
	v_fmac_f64_e32 v[44:45], s[2:3], v[40:41]
	v_add_f64 v[2:3], v[50:51], v[44:45]
	v_add_f64 v[50:51], v[2:3], -v[50:51]
	scratch_store_dwordx2 off, v[2:3], off offset:84 ; 8-byte Folded Spill
	v_add_f64 v[2:3], v[44:45], -v[50:51]
	v_cvt_i32_f64_e32 v1, v[40:41]
	scratch_store_dwordx2 off, v[2:3], off offset:92 ; 8-byte Folded Spill
	scratch_store_dword off, v1, off offset:76 ; 4-byte Folded Spill
.LBB1_12:
	s_or_b64 exec, exec, s[0:1]
                                        ; implicit-def: $vgpr2_vgpr3
                                        ; implicit-def: $vgpr1
                                        ; kill: killed $vgpr1
                                        ; kill: killed $vgpr2_vgpr3
                                        ; implicit-def: $vgpr2_vgpr3
                                        ; kill: killed $vgpr2_vgpr3
	s_and_saveexec_b64 s[0:1], vcc
	s_xor_b64 s[2:3], exec, s[0:1]
	s_cbranch_execz .LBB1_14
; %bb.13:
	s_mov_b32 s0, 0
	s_mov_b32 s1, 0x7b000000
	s_movk_i32 s4, 0xff80
	v_ldexp_f64 v[40:41], v[46:47], s4
	v_cmp_le_f64_e32 vcc, s[0:1], v[46:47]
	s_mov_b32 s0, 0
	s_mov_b32 s1, 0x7ff00000
	v_cndmask_b32_e32 v41, v47, v41, vcc
	v_cndmask_b32_e32 v40, v46, v40, vcc
	v_mul_f64 v[52:53], v[60:61], v[40:41]
	v_mul_f64 v[44:45], v[58:59], v[40:41]
	v_fma_f64 v[54:55], v[60:61], v[40:41], -v[52:53]
	v_add_f64 v[60:61], v[44:45], v[54:55]
	v_add_f64 v[70:71], v[60:61], -v[44:45]
	v_add_f64 v[54:55], v[54:55], -v[70:71]
	;; [unrolled: 1-line block ×4, first 2 shown]
	v_fma_f64 v[44:45], v[58:59], v[40:41], -v[44:45]
	v_mul_f64 v[58:59], v[56:57], v[40:41]
	v_add_f64 v[54:55], v[54:55], v[70:71]
	v_add_f64 v[70:71], v[58:59], v[44:45]
	;; [unrolled: 1-line block ×4, first 2 shown]
	v_ldexp_f64 v[66:67], v[64:65], -2
	v_add_f64 v[52:53], v[64:65], -v[52:53]
	v_add_f64 v[64:65], v[72:73], -v[70:71]
	;; [unrolled: 1-line block ×5, first 2 shown]
	v_add_f64 v[54:55], v[54:55], v[64:65]
	v_add_f64 v[64:65], v[70:71], -v[58:59]
	v_add_f64 v[44:45], v[44:45], -v[64:65]
	v_add_f64 v[64:65], v[70:71], -v[64:65]
	v_add_f64 v[64:65], v[58:59], -v[64:65]
	v_add_f64 v[52:53], v[60:61], -v[52:53]
	v_add_f64 v[44:45], v[44:45], v[64:65]
	v_fract_f64_e32 v[68:69], v[66:67]
	v_add_f64 v[60:61], v[52:53], v[72:73]
	v_add_f64 v[44:45], v[44:45], v[54:55]
	v_fma_f64 v[40:41], v[56:57], v[40:41], -v[58:59]
	v_add_f64 v[52:53], v[60:61], -v[52:53]
	v_add_f64 v[40:41], v[40:41], v[44:45]
	v_ldexp_f64 v[44:45], v[68:69], 2
	v_cmp_neq_f64_e64 vcc, |v[66:67]|, s[0:1]
	v_add_f64 v[52:53], v[72:73], -v[52:53]
	v_add_f64 v[40:41], v[52:53], v[40:41]
	v_cndmask_b32_e32 v45, 0, v45, vcc
	v_cndmask_b32_e32 v44, 0, v44, vcc
	v_add_f64 v[52:53], v[60:61], v[44:45]
	v_mov_b32_e32 v1, 0x40100000
	v_cmp_gt_f64_e32 vcc, 0, v[52:53]
	v_mov_b32_e32 v52, 0
	s_mov_b32 s4, 0x33145c07
	v_cndmask_b32_e32 v53, 0, v1, vcc
	v_add_f64 v[44:45], v[44:45], v[52:53]
	v_add_f64 v[54:55], v[60:61], v[44:45]
	v_cvt_i32_f64_e32 v1, v[54:55]
	v_cvt_f64_i32_e32 v[54:55], v1
	v_add_f64 v[44:45], v[44:45], -v[54:55]
	v_add_f64 v[54:55], v[60:61], v[44:45]
	v_cmp_le_f64_e32 vcc, 0.5, v[54:55]
	v_add_f64 v[44:45], v[54:55], -v[44:45]
	v_add_f64 v[44:45], v[60:61], -v[44:45]
	v_addc_co_u32_e64 v1, s[0:1], 0, v1, vcc
	scratch_store_dword off, v1, off offset:108 ; 4-byte Folded Spill
	v_mov_b32_e32 v1, 0x3ff00000
	v_cndmask_b32_e32 v53, 0, v1, vcc
	v_add_f64 v[40:41], v[40:41], v[44:45]
	v_add_f64 v[44:45], v[54:55], -v[52:53]
	v_add_f64 v[52:53], v[44:45], v[40:41]
	s_mov_b32 s0, 0x54442d18
	v_add_f64 v[44:45], v[52:53], -v[44:45]
	s_mov_b32 s1, 0x3ff921fb
	v_add_f64 v[40:41], v[40:41], -v[44:45]
	v_mul_f64 v[44:45], v[52:53], s[0:1]
	v_fma_f64 v[54:55], v[52:53], s[0:1], -v[44:45]
	s_mov_b32 s5, 0x3c91a626
	v_fmac_f64_e32 v[54:55], s[4:5], v[52:53]
	v_fmac_f64_e32 v[54:55], s[0:1], v[40:41]
	v_add_f64 v[2:3], v[44:45], v[54:55]
	v_add_f64 v[40:41], v[2:3], -v[44:45]
	scratch_store_dwordx2 off, v[2:3], off offset:112 ; 8-byte Folded Spill
	v_add_f64 v[2:3], v[54:55], -v[40:41]
	scratch_store_dwordx2 off, v[2:3], off offset:120 ; 8-byte Folded Spill
	s_andn2_saveexec_b64 s[0:1], s[2:3]
	s_cbranch_execnz .LBB1_15
	s_branch .LBB1_16
.LBB1_14:
	s_andn2_saveexec_b64 s[0:1], s[2:3]
	s_cbranch_execz .LBB1_16
.LBB1_15:
	s_mov_b32 s2, 0x6dc9c883
	s_mov_b32 s3, 0x3fe45f30
	v_mul_f64 v[40:41], v[46:47], s[2:3]
	s_mov_b32 s2, 0x54442d18
	v_rndne_f64_e32 v[40:41], v[40:41]
	s_mov_b32 s3, 0xbff921fb
	v_fma_f64 v[44:45], s[2:3], v[40:41], v[46:47]
	s_mov_b32 s3, 0xbc91a626
	s_mov_b32 s2, 0x33145c00
	v_mul_f64 v[52:53], v[40:41], s[2:3]
	v_add_f64 v[58:59], v[44:45], v[52:53]
	v_fma_f64 v[54:55], s[2:3], v[40:41], v[44:45]
	s_mov_b32 s3, 0x3c91a626
	v_add_f64 v[44:45], v[44:45], -v[58:59]
	v_fma_f64 v[56:57], s[2:3], v[40:41], v[52:53]
	v_add_f64 v[44:45], v[44:45], v[52:53]
	v_add_f64 v[52:53], v[58:59], -v[54:55]
	v_add_f64 v[44:45], v[52:53], v[44:45]
	s_mov_b32 s2, 0x252049c0
	v_add_f64 v[44:45], v[44:45], -v[56:57]
	s_mov_b32 s3, 0xb97b839a
	v_fmac_f64_e32 v[44:45], s[2:3], v[40:41]
	v_add_f64 v[2:3], v[54:55], v[44:45]
	v_add_f64 v[54:55], v[2:3], -v[54:55]
	scratch_store_dwordx2 off, v[2:3], off offset:112 ; 8-byte Folded Spill
	v_add_f64 v[2:3], v[44:45], -v[54:55]
	v_cvt_i32_f64_e32 v1, v[40:41]
	scratch_store_dwordx2 off, v[2:3], off offset:120 ; 8-byte Folded Spill
	scratch_store_dword off, v1, off offset:108 ; 4-byte Folded Spill
.LBB1_16:
	s_or_b64 exec, exec, s[0:1]
	s_mov_b32 s0, 0x7f3321d2
	s_mov_b32 s1, 0x3fb2d97c
	v_mul_f64 v[56:57], v[62:63], s[0:1]
	s_mov_b32 s0, 0
	s_mov_b32 s1, 0x41d00000
	v_cmp_ngt_f64_e32 vcc, s[0:1], v[56:57]
	v_trig_preop_f64 v[72:73], v[56:57], 0
	v_trig_preop_f64 v[70:71], v[56:57], 1
	;; [unrolled: 1-line block ×3, first 2 shown]
                                        ; implicit-def: $vgpr2_vgpr3
                                        ; implicit-def: $vgpr1
                                        ; kill: killed $vgpr1
                                        ; kill: killed $vgpr2_vgpr3
                                        ; implicit-def: $vgpr2_vgpr3
                                        ; kill: killed $vgpr2_vgpr3
	s_and_saveexec_b64 s[0:1], vcc
	s_xor_b64 s[4:5], exec, s[0:1]
	s_cbranch_execz .LBB1_18
; %bb.17:
	s_mov_b32 s0, 0
	s_mov_b32 s1, 0x7b000000
	s_movk_i32 s2, 0xff80
	v_ldexp_f64 v[40:41], v[56:57], s2
	v_cmp_le_f64_e64 s[0:1], s[0:1], v[56:57]
	v_mov_b32_e32 v1, 0x40100000
	s_nop 0
	v_cndmask_b32_e64 v41, v57, v41, s[0:1]
	v_cndmask_b32_e64 v40, v56, v40, s[0:1]
	v_mul_f64 v[58:59], v[72:73], v[40:41]
	v_mul_f64 v[44:45], v[70:71], v[40:41]
	v_fma_f64 v[60:61], v[72:73], v[40:41], -v[58:59]
	v_add_f64 v[64:65], v[44:45], v[60:61]
	v_add_f64 v[78:79], v[64:65], -v[44:45]
	v_add_f64 v[60:61], v[60:61], -v[78:79]
	;; [unrolled: 1-line block ×4, first 2 shown]
	v_add_f64 v[60:61], v[60:61], v[78:79]
	v_fma_f64 v[44:45], v[70:71], v[40:41], -v[44:45]
	v_mul_f64 v[78:79], v[68:69], v[40:41]
	v_add_f64 v[80:81], v[78:79], v[44:45]
	v_add_f64 v[66:67], v[58:59], v[64:65]
	;; [unrolled: 1-line block ×3, first 2 shown]
	v_ldexp_f64 v[74:75], v[66:67], -2
	v_add_f64 v[58:59], v[66:67], -v[58:59]
	v_add_f64 v[66:67], v[82:83], -v[80:81]
	;; [unrolled: 1-line block ×5, first 2 shown]
	v_add_f64 v[60:61], v[60:61], v[66:67]
	v_add_f64 v[66:67], v[80:81], -v[78:79]
	v_add_f64 v[44:45], v[44:45], -v[66:67]
	;; [unrolled: 1-line block ×5, first 2 shown]
	v_add_f64 v[44:45], v[44:45], v[66:67]
	s_mov_b32 s0, 0
	v_fract_f64_e32 v[76:77], v[74:75]
	v_add_f64 v[64:65], v[58:59], v[82:83]
	v_add_f64 v[44:45], v[44:45], v[60:61]
	v_fma_f64 v[40:41], v[68:69], v[40:41], -v[78:79]
	s_mov_b32 s1, 0x7ff00000
	v_add_f64 v[58:59], v[64:65], -v[58:59]
	v_add_f64 v[40:41], v[40:41], v[44:45]
	v_ldexp_f64 v[44:45], v[76:77], 2
	v_cmp_neq_f64_e64 s[0:1], |v[74:75]|, s[0:1]
	v_add_f64 v[58:59], v[82:83], -v[58:59]
	v_add_f64 v[40:41], v[58:59], v[40:41]
	v_cndmask_b32_e64 v45, 0, v45, s[0:1]
	v_cndmask_b32_e64 v44, 0, v44, s[0:1]
	v_add_f64 v[58:59], v[64:65], v[44:45]
	v_cmp_gt_f64_e64 s[0:1], 0, v[58:59]
	v_mov_b32_e32 v58, 0
	s_nop 0
	v_cndmask_b32_e64 v59, 0, v1, s[0:1]
	v_add_f64 v[44:45], v[44:45], v[58:59]
	v_add_f64 v[60:61], v[64:65], v[44:45]
	v_cvt_i32_f64_e32 v1, v[60:61]
	v_cvt_f64_i32_e32 v[60:61], v1
	v_add_f64 v[44:45], v[44:45], -v[60:61]
	v_add_f64 v[60:61], v[64:65], v[44:45]
	v_cmp_le_f64_e64 s[0:1], 0.5, v[60:61]
	v_add_f64 v[44:45], v[60:61], -v[44:45]
	v_add_f64 v[44:45], v[64:65], -v[44:45]
	v_addc_co_u32_e64 v1, s[2:3], 0, v1, s[0:1]
	scratch_store_dword off, v1, off offset:128 ; 4-byte Folded Spill
	v_mov_b32_e32 v1, 0x3ff00000
	v_cndmask_b32_e64 v59, 0, v1, s[0:1]
	v_add_f64 v[40:41], v[40:41], v[44:45]
	v_add_f64 v[44:45], v[60:61], -v[58:59]
	v_add_f64 v[58:59], v[44:45], v[40:41]
	s_mov_b32 s0, 0x54442d18
	v_add_f64 v[44:45], v[58:59], -v[44:45]
	s_mov_b32 s1, 0x3ff921fb
	v_add_f64 v[40:41], v[40:41], -v[44:45]
	v_mul_f64 v[44:45], v[58:59], s[0:1]
	s_mov_b32 s2, 0x33145c07
	v_fma_f64 v[60:61], v[58:59], s[0:1], -v[44:45]
	s_mov_b32 s3, 0x3c91a626
	v_fmac_f64_e32 v[60:61], s[2:3], v[58:59]
	v_fmac_f64_e32 v[60:61], s[0:1], v[40:41]
	v_add_f64 v[2:3], v[44:45], v[60:61]
	v_add_f64 v[40:41], v[2:3], -v[44:45]
	scratch_store_dwordx2 off, v[2:3], off offset:132 ; 8-byte Folded Spill
	v_add_f64 v[2:3], v[60:61], -v[40:41]
	scratch_store_dwordx2 off, v[2:3], off offset:140 ; 8-byte Folded Spill
	s_andn2_saveexec_b64 s[0:1], s[4:5]
	s_cbranch_execz .LBB1_20
	s_branch .LBB1_19
.LBB1_18:
	s_andn2_saveexec_b64 s[0:1], s[4:5]
	s_cbranch_execz .LBB1_20
.LBB1_19:
	s_mov_b32 s2, 0x6dc9c883
	s_mov_b32 s3, 0x3fe45f30
	v_mul_f64 v[40:41], v[56:57], s[2:3]
	s_mov_b32 s2, 0x54442d18
	v_rndne_f64_e32 v[40:41], v[40:41]
	s_mov_b32 s3, 0xbff921fb
	v_fma_f64 v[44:45], s[2:3], v[40:41], v[56:57]
	s_mov_b32 s3, 0xbc91a626
	s_mov_b32 s2, 0x33145c00
	v_mul_f64 v[58:59], v[40:41], s[2:3]
	v_add_f64 v[66:67], v[44:45], v[58:59]
	v_fma_f64 v[60:61], s[2:3], v[40:41], v[44:45]
	s_mov_b32 s3, 0x3c91a626
	v_add_f64 v[44:45], v[44:45], -v[66:67]
	v_fma_f64 v[64:65], s[2:3], v[40:41], v[58:59]
	v_add_f64 v[44:45], v[44:45], v[58:59]
	v_add_f64 v[58:59], v[66:67], -v[60:61]
	v_add_f64 v[44:45], v[58:59], v[44:45]
	s_mov_b32 s2, 0x252049c0
	v_add_f64 v[44:45], v[44:45], -v[64:65]
	s_mov_b32 s3, 0xb97b839a
	v_fmac_f64_e32 v[44:45], s[2:3], v[40:41]
	v_add_f64 v[2:3], v[60:61], v[44:45]
	v_add_f64 v[60:61], v[2:3], -v[60:61]
	scratch_store_dwordx2 off, v[2:3], off offset:132 ; 8-byte Folded Spill
	v_add_f64 v[2:3], v[44:45], -v[60:61]
	v_cvt_i32_f64_e32 v1, v[40:41]
	scratch_store_dwordx2 off, v[2:3], off offset:140 ; 8-byte Folded Spill
	scratch_store_dword off, v1, off offset:128 ; 4-byte Folded Spill
.LBB1_20:
	s_or_b64 exec, exec, s[0:1]
                                        ; implicit-def: $vgpr1
                                        ; kill: killed $vgpr1
                                        ; implicit-def: $vgpr48_vgpr49
                                        ; implicit-def: $vgpr2_vgpr3
                                        ; kill: killed $vgpr2_vgpr3
	s_and_saveexec_b64 s[0:1], vcc
	s_xor_b64 s[2:3], exec, s[0:1]
	s_cbranch_execz .LBB1_22
; %bb.21:
	s_mov_b32 s0, 0
	s_mov_b32 s1, 0x7b000000
	s_movk_i32 s4, 0xff80
	v_ldexp_f64 v[40:41], v[56:57], s4
	v_cmp_le_f64_e32 vcc, s[0:1], v[56:57]
	s_mov_b32 s0, 0
	s_mov_b32 s1, 0x7ff00000
	v_cndmask_b32_e32 v41, v57, v41, vcc
	v_cndmask_b32_e32 v40, v56, v40, vcc
	v_mul_f64 v[64:65], v[72:73], v[40:41]
	v_mul_f64 v[44:45], v[70:71], v[40:41]
	v_fma_f64 v[66:67], v[72:73], v[40:41], -v[64:65]
	v_add_f64 v[72:73], v[44:45], v[66:67]
	v_add_f64 v[80:81], v[72:73], -v[44:45]
	v_add_f64 v[66:67], v[66:67], -v[80:81]
	;; [unrolled: 1-line block ×4, first 2 shown]
	v_fma_f64 v[44:45], v[70:71], v[40:41], -v[44:45]
	v_mul_f64 v[70:71], v[68:69], v[40:41]
	v_add_f64 v[66:67], v[66:67], v[80:81]
	v_add_f64 v[80:81], v[70:71], v[44:45]
	;; [unrolled: 1-line block ×4, first 2 shown]
	v_ldexp_f64 v[76:77], v[74:75], -2
	v_add_f64 v[64:65], v[74:75], -v[64:65]
	v_add_f64 v[74:75], v[82:83], -v[80:81]
	;; [unrolled: 1-line block ×5, first 2 shown]
	v_add_f64 v[66:67], v[66:67], v[74:75]
	v_add_f64 v[74:75], v[80:81], -v[70:71]
	v_add_f64 v[44:45], v[44:45], -v[74:75]
	;; [unrolled: 1-line block ×5, first 2 shown]
	v_add_f64 v[44:45], v[44:45], v[74:75]
	v_fract_f64_e32 v[78:79], v[76:77]
	v_add_f64 v[72:73], v[64:65], v[82:83]
	v_add_f64 v[44:45], v[44:45], v[66:67]
	v_fma_f64 v[40:41], v[68:69], v[40:41], -v[70:71]
	v_add_f64 v[64:65], v[72:73], -v[64:65]
	v_add_f64 v[40:41], v[40:41], v[44:45]
	v_ldexp_f64 v[44:45], v[78:79], 2
	v_cmp_neq_f64_e64 vcc, |v[76:77]|, s[0:1]
	v_add_f64 v[64:65], v[82:83], -v[64:65]
	v_add_f64 v[40:41], v[64:65], v[40:41]
	v_cndmask_b32_e32 v45, 0, v45, vcc
	v_cndmask_b32_e32 v44, 0, v44, vcc
	v_add_f64 v[64:65], v[72:73], v[44:45]
	v_mov_b32_e32 v1, 0x40100000
	v_cmp_gt_f64_e32 vcc, 0, v[64:65]
	v_mov_b32_e32 v64, 0
	v_mov_b32_e32 v2, 0x3ff00000
	v_cndmask_b32_e32 v65, 0, v1, vcc
	v_add_f64 v[44:45], v[44:45], v[64:65]
	v_add_f64 v[66:67], v[72:73], v[44:45]
	v_cvt_i32_f64_e32 v1, v[66:67]
	v_cvt_f64_i32_e32 v[66:67], v1
	v_add_f64 v[44:45], v[44:45], -v[66:67]
	v_add_f64 v[66:67], v[72:73], v[44:45]
	v_add_f64 v[44:45], v[66:67], -v[44:45]
	v_cmp_le_f64_e32 vcc, 0.5, v[66:67]
	v_add_f64 v[44:45], v[72:73], -v[44:45]
	v_add_f64 v[40:41], v[40:41], v[44:45]
	v_cndmask_b32_e32 v65, 0, v2, vcc
	v_addc_co_u32_e64 v1, s[0:1], 0, v1, vcc
	v_add_f64 v[44:45], v[66:67], -v[64:65]
	v_add_f64 v[64:65], v[44:45], v[40:41]
	s_mov_b32 s0, 0x54442d18
	v_add_f64 v[44:45], v[64:65], -v[44:45]
	s_mov_b32 s1, 0x3ff921fb
	v_add_f64 v[40:41], v[40:41], -v[44:45]
	v_mul_f64 v[44:45], v[64:65], s[0:1]
	s_mov_b32 s4, 0x33145c07
	v_fma_f64 v[66:67], v[64:65], s[0:1], -v[44:45]
	s_mov_b32 s5, 0x3c91a626
	v_fmac_f64_e32 v[66:67], s[4:5], v[64:65]
	v_fmac_f64_e32 v[66:67], s[0:1], v[40:41]
	v_add_f64 v[48:49], v[44:45], v[66:67]
	v_add_f64 v[40:41], v[48:49], -v[44:45]
	v_add_f64 v[2:3], v[66:67], -v[40:41]
	scratch_store_dword off, v1, off offset:148 ; 4-byte Folded Spill
	scratch_store_dwordx2 off, v[2:3], off offset:156 ; 8-byte Folded Spill
	s_andn2_saveexec_b64 s[0:1], s[2:3]
	s_cbranch_execnz .LBB1_23
	s_branch .LBB1_24
.LBB1_22:
	s_andn2_saveexec_b64 s[0:1], s[2:3]
	s_cbranch_execz .LBB1_24
.LBB1_23:
	s_mov_b32 s2, 0x6dc9c883
	s_mov_b32 s3, 0x3fe45f30
	v_mul_f64 v[40:41], v[56:57], s[2:3]
	s_mov_b32 s2, 0x54442d18
	v_rndne_f64_e32 v[40:41], v[40:41]
	s_mov_b32 s3, 0xbff921fb
	v_fma_f64 v[44:45], s[2:3], v[40:41], v[56:57]
	s_mov_b32 s3, 0xbc91a626
	s_mov_b32 s2, 0x33145c00
	v_mul_f64 v[64:65], v[40:41], s[2:3]
	v_add_f64 v[70:71], v[44:45], v[64:65]
	v_fma_f64 v[66:67], s[2:3], v[40:41], v[44:45]
	s_mov_b32 s3, 0x3c91a626
	v_add_f64 v[44:45], v[44:45], -v[70:71]
	v_fma_f64 v[68:69], s[2:3], v[40:41], v[64:65]
	v_add_f64 v[44:45], v[44:45], v[64:65]
	v_add_f64 v[64:65], v[70:71], -v[66:67]
	v_add_f64 v[44:45], v[64:65], v[44:45]
	s_mov_b32 s2, 0x252049c0
	v_add_f64 v[44:45], v[44:45], -v[68:69]
	s_mov_b32 s3, 0xb97b839a
	v_fmac_f64_e32 v[44:45], s[2:3], v[40:41]
	v_add_f64 v[48:49], v[66:67], v[44:45]
	v_add_f64 v[66:67], v[48:49], -v[66:67]
	v_add_f64 v[2:3], v[44:45], -v[66:67]
	v_cvt_i32_f64_e32 v1, v[40:41]
	scratch_store_dwordx2 off, v[2:3], off offset:156 ; 8-byte Folded Spill
	scratch_store_dword off, v1, off offset:148 ; 4-byte Folded Spill
.LBB1_24:
	s_or_b64 exec, exec, s[0:1]
	s_mov_b32 s5, 0x3f8921fb
	s_mov_b32 s4, 0x54442d18
	;; [unrolled: 1-line block ×3, first 2 shown]
	v_mul_f64 v[68:69], v[62:63], s[4:5]
	s_mov_b32 s1, 0x41d00000
	v_cmp_ngt_f64_e32 vcc, s[0:1], v[68:69]
	v_trig_preop_f64 v[82:83], v[68:69], 0
	v_trig_preop_f64 v[80:81], v[68:69], 1
	v_trig_preop_f64 v[78:79], v[68:69], 2
                                        ; implicit-def: $vgpr1
                                        ; implicit-def: $vgpr70_vgpr71
                                        ; implicit-def: $vgpr22_vgpr23
	s_and_saveexec_b64 s[0:1], vcc
	s_xor_b64 s[6:7], exec, s[0:1]
	s_cbranch_execz .LBB1_26
; %bb.25:
	s_mov_b32 s0, 0
	s_mov_b32 s1, 0x7b000000
	s_movk_i32 s2, 0xff80
	v_ldexp_f64 v[40:41], v[68:69], s2
	v_cmp_le_f64_e64 s[0:1], s[0:1], v[68:69]
	v_mov_b32_e32 v2, 0x40100000
	s_mov_b32 s5, 0x3ff921fb
	v_cndmask_b32_e64 v41, v69, v41, s[0:1]
	v_cndmask_b32_e64 v40, v68, v40, s[0:1]
	v_mul_f64 v[70:71], v[82:83], v[40:41]
	v_mul_f64 v[44:45], v[80:81], v[40:41]
	v_fma_f64 v[72:73], v[82:83], v[40:41], -v[70:71]
	v_add_f64 v[74:75], v[44:45], v[72:73]
	v_add_f64 v[88:89], v[74:75], -v[44:45]
	v_add_f64 v[72:73], v[72:73], -v[88:89]
	v_add_f64 v[88:89], v[74:75], -v[88:89]
	v_add_f64 v[88:89], v[44:45], -v[88:89]
	v_add_f64 v[72:73], v[72:73], v[88:89]
	v_fma_f64 v[44:45], v[80:81], v[40:41], -v[44:45]
	v_mul_f64 v[88:89], v[78:79], v[40:41]
	v_add_f64 v[90:91], v[88:89], v[44:45]
	v_add_f64 v[76:77], v[70:71], v[74:75]
	;; [unrolled: 1-line block ×3, first 2 shown]
	v_ldexp_f64 v[84:85], v[76:77], -2
	v_add_f64 v[70:71], v[76:77], -v[70:71]
	v_add_f64 v[76:77], v[92:93], -v[90:91]
	;; [unrolled: 1-line block ×5, first 2 shown]
	v_add_f64 v[72:73], v[72:73], v[76:77]
	v_add_f64 v[76:77], v[90:91], -v[88:89]
	v_add_f64 v[44:45], v[44:45], -v[76:77]
	;; [unrolled: 1-line block ×5, first 2 shown]
	v_add_f64 v[44:45], v[44:45], v[76:77]
	s_mov_b32 s0, 0
	v_fract_f64_e32 v[86:87], v[84:85]
	v_add_f64 v[74:75], v[70:71], v[92:93]
	v_add_f64 v[44:45], v[44:45], v[72:73]
	v_fma_f64 v[40:41], v[78:79], v[40:41], -v[88:89]
	s_mov_b32 s1, 0x7ff00000
	v_add_f64 v[70:71], v[74:75], -v[70:71]
	v_add_f64 v[40:41], v[40:41], v[44:45]
	v_ldexp_f64 v[44:45], v[86:87], 2
	v_cmp_neq_f64_e64 s[0:1], |v[84:85]|, s[0:1]
	v_add_f64 v[70:71], v[92:93], -v[70:71]
	v_add_f64 v[40:41], v[70:71], v[40:41]
	v_cndmask_b32_e64 v45, 0, v45, s[0:1]
	v_cndmask_b32_e64 v44, 0, v44, s[0:1]
	v_add_f64 v[70:71], v[74:75], v[44:45]
	v_cmp_gt_f64_e64 s[0:1], 0, v[70:71]
	v_mov_b32_e32 v70, 0
	s_nop 0
	v_cndmask_b32_e64 v71, 0, v2, s[0:1]
	v_add_f64 v[44:45], v[44:45], v[70:71]
	v_add_f64 v[72:73], v[74:75], v[44:45]
	v_cvt_i32_f64_e32 v2, v[72:73]
	v_cvt_f64_i32_e32 v[72:73], v2
	v_add_f64 v[44:45], v[44:45], -v[72:73]
	v_add_f64 v[72:73], v[74:75], v[44:45]
	v_cmp_le_f64_e64 s[0:1], 0.5, v[72:73]
	v_add_f64 v[44:45], v[72:73], -v[44:45]
	v_add_f64 v[44:45], v[74:75], -v[44:45]
	v_addc_co_u32_e64 v1, s[2:3], 0, v2, s[0:1]
	v_mov_b32_e32 v2, 0x3ff00000
	v_cndmask_b32_e64 v71, 0, v2, s[0:1]
	v_add_f64 v[40:41], v[40:41], v[44:45]
	v_add_f64 v[44:45], v[72:73], -v[70:71]
	v_add_f64 v[70:71], v[44:45], v[40:41]
	v_add_f64 v[44:45], v[70:71], -v[44:45]
	v_add_f64 v[40:41], v[40:41], -v[44:45]
	v_mul_f64 v[44:45], v[70:71], s[4:5]
	s_mov_b32 s0, 0x33145c07
	v_fma_f64 v[72:73], v[70:71], s[4:5], -v[44:45]
	s_mov_b32 s1, 0x3c91a626
	v_fmac_f64_e32 v[72:73], s[0:1], v[70:71]
	v_fmac_f64_e32 v[72:73], s[4:5], v[40:41]
	v_add_f64 v[70:71], v[44:45], v[72:73]
	v_add_f64 v[40:41], v[70:71], -v[44:45]
	v_add_f64 v[22:23], v[72:73], -v[40:41]
	s_andn2_saveexec_b64 s[0:1], s[6:7]
	s_cbranch_execz .LBB1_28
	s_branch .LBB1_27
.LBB1_26:
	s_andn2_saveexec_b64 s[0:1], s[6:7]
	s_cbranch_execz .LBB1_28
.LBB1_27:
	s_mov_b32 s2, 0x6dc9c883
	s_mov_b32 s3, 0x3fe45f30
	v_mul_f64 v[40:41], v[68:69], s[2:3]
	s_mov_b32 s2, 0x54442d18
	v_rndne_f64_e32 v[40:41], v[40:41]
	s_mov_b32 s3, 0xbff921fb
	v_fma_f64 v[44:45], s[2:3], v[40:41], v[68:69]
	s_mov_b32 s3, 0xbc91a626
	s_mov_b32 s2, 0x33145c00
	v_mul_f64 v[70:71], v[40:41], s[2:3]
	v_add_f64 v[76:77], v[44:45], v[70:71]
	v_fma_f64 v[72:73], s[2:3], v[40:41], v[44:45]
	s_mov_b32 s3, 0x3c91a626
	v_add_f64 v[44:45], v[44:45], -v[76:77]
	v_fma_f64 v[74:75], s[2:3], v[40:41], v[70:71]
	v_add_f64 v[44:45], v[44:45], v[70:71]
	v_add_f64 v[70:71], v[76:77], -v[72:73]
	v_add_f64 v[44:45], v[70:71], v[44:45]
	s_mov_b32 s2, 0x252049c0
	v_add_f64 v[44:45], v[44:45], -v[74:75]
	s_mov_b32 s3, 0xb97b839a
	v_fmac_f64_e32 v[44:45], s[2:3], v[40:41]
	v_add_f64 v[70:71], v[72:73], v[44:45]
	v_add_f64 v[72:73], v[70:71], -v[72:73]
	v_add_f64 v[22:23], v[44:45], -v[72:73]
	v_cvt_i32_f64_e32 v1, v[40:41]
.LBB1_28:
	s_or_b64 exec, exec, s[0:1]
                                        ; implicit-def: $vgpr2
                                        ; kill: killed $vgpr2
                                        ; implicit-def: $vgpr42_vgpr43
                                        ; implicit-def: $vgpr76_vgpr77
	s_and_saveexec_b64 s[0:1], vcc
	s_xor_b64 s[2:3], exec, s[0:1]
	s_cbranch_execz .LBB1_30
; %bb.29:
	s_mov_b32 s0, 0
	s_mov_b32 s1, 0x7b000000
	s_movk_i32 s4, 0xff80
	v_ldexp_f64 v[40:41], v[68:69], s4
	v_cmp_le_f64_e32 vcc, s[0:1], v[68:69]
	s_mov_b32 s0, 0
	s_mov_b32 s1, 0x7ff00000
	v_cndmask_b32_e32 v41, v69, v41, vcc
	v_cndmask_b32_e32 v40, v68, v40, vcc
	v_mul_f64 v[74:75], v[82:83], v[40:41]
	v_mul_f64 v[44:45], v[80:81], v[40:41]
	v_fma_f64 v[76:77], v[82:83], v[40:41], -v[74:75]
	v_add_f64 v[82:83], v[44:45], v[76:77]
	v_add_f64 v[90:91], v[82:83], -v[44:45]
	v_add_f64 v[76:77], v[76:77], -v[90:91]
	;; [unrolled: 1-line block ×4, first 2 shown]
	v_fma_f64 v[44:45], v[80:81], v[40:41], -v[44:45]
	v_mul_f64 v[80:81], v[78:79], v[40:41]
	v_add_f64 v[76:77], v[76:77], v[90:91]
	v_add_f64 v[90:91], v[80:81], v[44:45]
	;; [unrolled: 1-line block ×4, first 2 shown]
	v_ldexp_f64 v[86:87], v[84:85], -2
	v_add_f64 v[74:75], v[84:85], -v[74:75]
	v_add_f64 v[84:85], v[92:93], -v[90:91]
	;; [unrolled: 1-line block ×5, first 2 shown]
	v_add_f64 v[76:77], v[76:77], v[84:85]
	v_add_f64 v[84:85], v[90:91], -v[80:81]
	v_add_f64 v[44:45], v[44:45], -v[84:85]
	;; [unrolled: 1-line block ×5, first 2 shown]
	v_add_f64 v[44:45], v[44:45], v[84:85]
	v_fract_f64_e32 v[88:89], v[86:87]
	v_add_f64 v[82:83], v[74:75], v[92:93]
	v_add_f64 v[44:45], v[44:45], v[76:77]
	v_fma_f64 v[40:41], v[78:79], v[40:41], -v[80:81]
	v_add_f64 v[74:75], v[82:83], -v[74:75]
	v_add_f64 v[40:41], v[40:41], v[44:45]
	v_ldexp_f64 v[44:45], v[88:89], 2
	v_cmp_neq_f64_e64 vcc, |v[86:87]|, s[0:1]
	v_add_f64 v[74:75], v[92:93], -v[74:75]
	v_add_f64 v[40:41], v[74:75], v[40:41]
	v_cndmask_b32_e32 v45, 0, v45, vcc
	v_cndmask_b32_e32 v44, 0, v44, vcc
	v_add_f64 v[74:75], v[82:83], v[44:45]
	v_mov_b32_e32 v2, 0x40100000
	v_cmp_gt_f64_e32 vcc, 0, v[74:75]
	v_mov_b32_e32 v74, 0
	s_mov_b32 s4, 0x33145c07
	v_cndmask_b32_e32 v75, 0, v2, vcc
	v_add_f64 v[44:45], v[44:45], v[74:75]
	v_add_f64 v[76:77], v[82:83], v[44:45]
	v_cvt_i32_f64_e32 v2, v[76:77]
	v_cvt_f64_i32_e32 v[76:77], v2
	v_add_f64 v[44:45], v[44:45], -v[76:77]
	v_add_f64 v[76:77], v[82:83], v[44:45]
	v_cmp_le_f64_e32 vcc, 0.5, v[76:77]
	v_add_f64 v[44:45], v[76:77], -v[44:45]
	v_add_f64 v[44:45], v[82:83], -v[44:45]
	v_addc_co_u32_e64 v2, s[0:1], 0, v2, vcc
	scratch_store_dword off, v2, off offset:164 ; 4-byte Folded Spill
	v_mov_b32_e32 v2, 0x3ff00000
	v_cndmask_b32_e32 v75, 0, v2, vcc
	v_add_f64 v[40:41], v[40:41], v[44:45]
	v_add_f64 v[44:45], v[76:77], -v[74:75]
	v_add_f64 v[74:75], v[44:45], v[40:41]
	s_mov_b32 s0, 0x54442d18
	v_add_f64 v[44:45], v[74:75], -v[44:45]
	s_mov_b32 s1, 0x3ff921fb
	v_add_f64 v[40:41], v[40:41], -v[44:45]
	v_mul_f64 v[44:45], v[74:75], s[0:1]
	v_fma_f64 v[76:77], v[74:75], s[0:1], -v[44:45]
	s_mov_b32 s5, 0x3c91a626
	v_fmac_f64_e32 v[76:77], s[4:5], v[74:75]
	v_fmac_f64_e32 v[76:77], s[0:1], v[40:41]
	v_add_f64 v[42:43], v[44:45], v[76:77]
	v_add_f64 v[40:41], v[42:43], -v[44:45]
	v_add_f64 v[76:77], v[76:77], -v[40:41]
	s_andn2_saveexec_b64 s[0:1], s[2:3]
	s_cbranch_execnz .LBB1_31
	s_branch .LBB1_32
.LBB1_30:
	s_andn2_saveexec_b64 s[0:1], s[2:3]
	s_cbranch_execz .LBB1_32
.LBB1_31:
	s_mov_b32 s2, 0x6dc9c883
	s_mov_b32 s3, 0x3fe45f30
	v_mul_f64 v[40:41], v[68:69], s[2:3]
	s_mov_b32 s2, 0x54442d18
	v_rndne_f64_e32 v[40:41], v[40:41]
	s_mov_b32 s3, 0xbff921fb
	v_fma_f64 v[44:45], s[2:3], v[40:41], v[68:69]
	s_mov_b32 s3, 0xbc91a626
	s_mov_b32 s2, 0x33145c00
	v_mul_f64 v[74:75], v[40:41], s[2:3]
	v_add_f64 v[80:81], v[44:45], v[74:75]
	v_fma_f64 v[76:77], s[2:3], v[40:41], v[44:45]
	s_mov_b32 s3, 0x3c91a626
	v_add_f64 v[44:45], v[44:45], -v[80:81]
	v_fma_f64 v[78:79], s[2:3], v[40:41], v[74:75]
	v_add_f64 v[44:45], v[44:45], v[74:75]
	v_add_f64 v[74:75], v[80:81], -v[76:77]
	v_add_f64 v[44:45], v[74:75], v[44:45]
	s_mov_b32 s2, 0x252049c0
	v_add_f64 v[44:45], v[44:45], -v[78:79]
	s_mov_b32 s3, 0xb97b839a
	v_fmac_f64_e32 v[44:45], s[2:3], v[40:41]
	v_add_f64 v[42:43], v[76:77], v[44:45]
	v_add_f64 v[76:77], v[42:43], -v[76:77]
	v_add_f64 v[76:77], v[44:45], -v[76:77]
	v_cvt_i32_f64_e32 v2, v[40:41]
	scratch_store_dword off, v2, off offset:164 ; 4-byte Folded Spill
.LBB1_32:
	s_or_b64 exec, exec, s[0:1]
	s_mov_b32 s0, 0x2955385e
	s_mov_b32 s1, 0x3faf6a7a
	v_mul_f64 v[78:79], v[62:63], s[0:1]
	s_mov_b32 s0, 0
	s_mov_b32 s1, 0x41d00000
	v_cmp_ngt_f64_e32 vcc, s[0:1], v[78:79]
	v_trig_preop_f64 v[92:93], v[78:79], 0
	v_trig_preop_f64 v[90:91], v[78:79], 1
	v_trig_preop_f64 v[88:89], v[78:79], 2
                                        ; implicit-def: $vgpr21
                                        ; implicit-def: $vgpr80_vgpr81
                                        ; implicit-def: $vgpr82_vgpr83
	s_and_saveexec_b64 s[0:1], vcc
	s_xor_b64 s[4:5], exec, s[0:1]
	s_cbranch_execz .LBB1_34
; %bb.33:
	s_mov_b32 s0, 0
	s_mov_b32 s1, 0x7b000000
	s_movk_i32 s2, 0xff80
	v_ldexp_f64 v[40:41], v[78:79], s2
	v_cmp_le_f64_e64 s[0:1], s[0:1], v[78:79]
	v_mov_b32_e32 v2, 0x40100000
	s_nop 0
	v_cndmask_b32_e64 v41, v79, v41, s[0:1]
	v_cndmask_b32_e64 v40, v78, v40, s[0:1]
	v_mul_f64 v[80:81], v[92:93], v[40:41]
	v_mul_f64 v[44:45], v[90:91], v[40:41]
	v_fma_f64 v[82:83], v[92:93], v[40:41], -v[80:81]
	v_add_f64 v[84:85], v[44:45], v[82:83]
	v_add_f64 v[98:99], v[84:85], -v[44:45]
	v_add_f64 v[82:83], v[82:83], -v[98:99]
	;; [unrolled: 1-line block ×4, first 2 shown]
	v_add_f64 v[82:83], v[82:83], v[98:99]
	v_fma_f64 v[44:45], v[90:91], v[40:41], -v[44:45]
	v_mul_f64 v[98:99], v[88:89], v[40:41]
	v_add_f64 v[100:101], v[98:99], v[44:45]
	v_add_f64 v[86:87], v[80:81], v[84:85]
	;; [unrolled: 1-line block ×3, first 2 shown]
	v_ldexp_f64 v[94:95], v[86:87], -2
	v_add_f64 v[80:81], v[86:87], -v[80:81]
	v_add_f64 v[86:87], v[102:103], -v[100:101]
	;; [unrolled: 1-line block ×5, first 2 shown]
	v_add_f64 v[82:83], v[82:83], v[86:87]
	v_add_f64 v[86:87], v[100:101], -v[98:99]
	v_add_f64 v[44:45], v[44:45], -v[86:87]
	;; [unrolled: 1-line block ×5, first 2 shown]
	v_add_f64 v[44:45], v[44:45], v[86:87]
	s_mov_b32 s0, 0
	v_fract_f64_e32 v[96:97], v[94:95]
	v_add_f64 v[84:85], v[80:81], v[102:103]
	v_add_f64 v[44:45], v[44:45], v[82:83]
	v_fma_f64 v[40:41], v[88:89], v[40:41], -v[98:99]
	s_mov_b32 s1, 0x7ff00000
	v_add_f64 v[80:81], v[84:85], -v[80:81]
	v_add_f64 v[40:41], v[40:41], v[44:45]
	v_ldexp_f64 v[44:45], v[96:97], 2
	v_cmp_neq_f64_e64 s[0:1], |v[94:95]|, s[0:1]
	v_add_f64 v[80:81], v[102:103], -v[80:81]
	v_add_f64 v[40:41], v[80:81], v[40:41]
	v_cndmask_b32_e64 v45, 0, v45, s[0:1]
	v_cndmask_b32_e64 v44, 0, v44, s[0:1]
	v_add_f64 v[80:81], v[84:85], v[44:45]
	v_cmp_gt_f64_e64 s[0:1], 0, v[80:81]
	v_mov_b32_e32 v80, 0
	s_nop 0
	v_cndmask_b32_e64 v81, 0, v2, s[0:1]
	v_add_f64 v[44:45], v[44:45], v[80:81]
	v_add_f64 v[82:83], v[84:85], v[44:45]
	v_cvt_i32_f64_e32 v2, v[82:83]
	v_cvt_f64_i32_e32 v[82:83], v2
	v_add_f64 v[44:45], v[44:45], -v[82:83]
	v_add_f64 v[82:83], v[84:85], v[44:45]
	v_cmp_le_f64_e64 s[0:1], 0.5, v[82:83]
	v_add_f64 v[44:45], v[82:83], -v[44:45]
	v_add_f64 v[44:45], v[84:85], -v[44:45]
	v_addc_co_u32_e64 v21, s[2:3], 0, v2, s[0:1]
	v_mov_b32_e32 v2, 0x3ff00000
	v_cndmask_b32_e64 v81, 0, v2, s[0:1]
	v_add_f64 v[40:41], v[40:41], v[44:45]
	v_add_f64 v[44:45], v[82:83], -v[80:81]
	v_add_f64 v[80:81], v[44:45], v[40:41]
	s_mov_b32 s0, 0x54442d18
	v_add_f64 v[44:45], v[80:81], -v[44:45]
	s_mov_b32 s1, 0x3ff921fb
	v_add_f64 v[40:41], v[40:41], -v[44:45]
	v_mul_f64 v[44:45], v[80:81], s[0:1]
	s_mov_b32 s2, 0x33145c07
	v_fma_f64 v[82:83], v[80:81], s[0:1], -v[44:45]
	s_mov_b32 s3, 0x3c91a626
	v_fmac_f64_e32 v[82:83], s[2:3], v[80:81]
	v_fmac_f64_e32 v[82:83], s[0:1], v[40:41]
	v_add_f64 v[80:81], v[44:45], v[82:83]
	v_add_f64 v[40:41], v[80:81], -v[44:45]
	v_add_f64 v[82:83], v[82:83], -v[40:41]
	s_andn2_saveexec_b64 s[0:1], s[4:5]
	s_cbranch_execz .LBB1_36
	s_branch .LBB1_35
.LBB1_34:
	s_andn2_saveexec_b64 s[0:1], s[4:5]
	s_cbranch_execz .LBB1_36
.LBB1_35:
	s_mov_b32 s2, 0x6dc9c883
	s_mov_b32 s3, 0x3fe45f30
	v_mul_f64 v[40:41], v[78:79], s[2:3]
	s_mov_b32 s2, 0x54442d18
	v_rndne_f64_e32 v[40:41], v[40:41]
	s_mov_b32 s3, 0xbff921fb
	v_fma_f64 v[44:45], s[2:3], v[40:41], v[78:79]
	s_mov_b32 s3, 0xbc91a626
	s_mov_b32 s2, 0x33145c00
	v_mul_f64 v[80:81], v[40:41], s[2:3]
	v_add_f64 v[86:87], v[44:45], v[80:81]
	v_fma_f64 v[82:83], s[2:3], v[40:41], v[44:45]
	s_mov_b32 s3, 0x3c91a626
	v_add_f64 v[44:45], v[44:45], -v[86:87]
	v_fma_f64 v[84:85], s[2:3], v[40:41], v[80:81]
	v_add_f64 v[44:45], v[44:45], v[80:81]
	v_add_f64 v[80:81], v[86:87], -v[82:83]
	v_add_f64 v[44:45], v[80:81], v[44:45]
	s_mov_b32 s2, 0x252049c0
	v_add_f64 v[44:45], v[44:45], -v[84:85]
	s_mov_b32 s3, 0xb97b839a
	v_fmac_f64_e32 v[44:45], s[2:3], v[40:41]
	v_add_f64 v[80:81], v[82:83], v[44:45]
	v_add_f64 v[82:83], v[80:81], -v[82:83]
	v_add_f64 v[82:83], v[44:45], -v[82:83]
	v_cvt_i32_f64_e32 v21, v[40:41]
.LBB1_36:
	s_or_b64 exec, exec, s[0:1]
                                        ; implicit-def: $vgpr20
                                        ; implicit-def: $vgpr84_vgpr85
                                        ; implicit-def: $vgpr86_vgpr87
	s_and_saveexec_b64 s[0:1], vcc
	s_xor_b64 s[2:3], exec, s[0:1]
	s_cbranch_execz .LBB1_38
; %bb.37:
	s_mov_b32 s0, 0
	s_mov_b32 s1, 0x7b000000
	s_movk_i32 s4, 0xff80
	v_ldexp_f64 v[40:41], v[78:79], s4
	v_cmp_le_f64_e32 vcc, s[0:1], v[78:79]
	s_mov_b32 s0, 0
	s_mov_b32 s1, 0x7ff00000
	v_cndmask_b32_e32 v41, v79, v41, vcc
	v_cndmask_b32_e32 v40, v78, v40, vcc
	v_mul_f64 v[84:85], v[92:93], v[40:41]
	v_mul_f64 v[44:45], v[90:91], v[40:41]
	v_fma_f64 v[86:87], v[92:93], v[40:41], -v[84:85]
	v_add_f64 v[92:93], v[44:45], v[86:87]
	v_add_f64 v[100:101], v[92:93], -v[44:45]
	v_add_f64 v[86:87], v[86:87], -v[100:101]
	v_add_f64 v[100:101], v[92:93], -v[100:101]
	v_add_f64 v[100:101], v[44:45], -v[100:101]
	v_fma_f64 v[44:45], v[90:91], v[40:41], -v[44:45]
	v_mul_f64 v[90:91], v[88:89], v[40:41]
	v_add_f64 v[86:87], v[86:87], v[100:101]
	v_add_f64 v[100:101], v[90:91], v[44:45]
	;; [unrolled: 1-line block ×4, first 2 shown]
	v_ldexp_f64 v[96:97], v[94:95], -2
	v_add_f64 v[84:85], v[94:95], -v[84:85]
	v_add_f64 v[94:95], v[102:103], -v[100:101]
	;; [unrolled: 1-line block ×5, first 2 shown]
	v_add_f64 v[86:87], v[86:87], v[94:95]
	v_add_f64 v[94:95], v[100:101], -v[90:91]
	v_add_f64 v[44:45], v[44:45], -v[94:95]
	;; [unrolled: 1-line block ×5, first 2 shown]
	v_add_f64 v[44:45], v[44:45], v[94:95]
	v_fract_f64_e32 v[98:99], v[96:97]
	v_add_f64 v[92:93], v[84:85], v[102:103]
	v_add_f64 v[44:45], v[44:45], v[86:87]
	v_fma_f64 v[40:41], v[88:89], v[40:41], -v[90:91]
	v_add_f64 v[84:85], v[92:93], -v[84:85]
	v_add_f64 v[40:41], v[40:41], v[44:45]
	v_ldexp_f64 v[44:45], v[98:99], 2
	v_cmp_neq_f64_e64 vcc, |v[96:97]|, s[0:1]
	v_add_f64 v[84:85], v[102:103], -v[84:85]
	v_add_f64 v[40:41], v[84:85], v[40:41]
	v_cndmask_b32_e32 v45, 0, v45, vcc
	v_cndmask_b32_e32 v44, 0, v44, vcc
	v_add_f64 v[84:85], v[92:93], v[44:45]
	v_mov_b32_e32 v2, 0x40100000
	v_cmp_gt_f64_e32 vcc, 0, v[84:85]
	v_mov_b32_e32 v84, 0
	s_mov_b32 s4, 0x33145c07
	v_cndmask_b32_e32 v85, 0, v2, vcc
	v_add_f64 v[44:45], v[44:45], v[84:85]
	v_add_f64 v[86:87], v[92:93], v[44:45]
	v_cvt_i32_f64_e32 v2, v[86:87]
	v_cvt_f64_i32_e32 v[86:87], v2
	v_add_f64 v[44:45], v[44:45], -v[86:87]
	v_add_f64 v[86:87], v[92:93], v[44:45]
	v_cmp_le_f64_e32 vcc, 0.5, v[86:87]
	v_add_f64 v[44:45], v[86:87], -v[44:45]
	v_add_f64 v[44:45], v[92:93], -v[44:45]
	v_addc_co_u32_e64 v20, s[0:1], 0, v2, vcc
	v_mov_b32_e32 v2, 0x3ff00000
	v_cndmask_b32_e32 v85, 0, v2, vcc
	v_add_f64 v[44:45], v[40:41], v[44:45]
	v_add_f64 v[84:85], v[86:87], -v[84:85]
	s_mov_b32 s0, 0x54442d18
	v_add_f64 v[86:87], v[84:85], v[44:45]
	s_mov_b32 s1, 0x3ff921fb
	v_mul_f64 v[88:89], v[86:87], s[0:1]
	v_add_f64 v[84:85], v[86:87], -v[84:85]
	v_fma_f64 v[90:91], v[86:87], s[0:1], -v[88:89]
	s_mov_b32 s5, 0x3c91a626
	v_add_f64 v[44:45], v[44:45], -v[84:85]
	v_fmac_f64_e32 v[90:91], s[4:5], v[86:87]
	v_fmac_f64_e32 v[90:91], s[0:1], v[44:45]
	v_add_f64 v[84:85], v[88:89], v[90:91]
	v_add_f64 v[44:45], v[84:85], -v[88:89]
	v_add_f64 v[86:87], v[90:91], -v[44:45]
	s_andn2_saveexec_b64 s[0:1], s[2:3]
	s_cbranch_execnz .LBB1_39
	s_branch .LBB1_40
.LBB1_38:
	s_andn2_saveexec_b64 s[0:1], s[2:3]
	s_cbranch_execz .LBB1_40
.LBB1_39:
	s_mov_b32 s2, 0x6dc9c883
	s_mov_b32 s3, 0x3fe45f30
	v_mul_f64 v[40:41], v[78:79], s[2:3]
	s_mov_b32 s2, 0x54442d18
	v_rndne_f64_e32 v[40:41], v[40:41]
	s_mov_b32 s3, 0xbff921fb
	v_fma_f64 v[44:45], s[2:3], v[40:41], v[78:79]
	s_mov_b32 s3, 0xbc91a626
	s_mov_b32 s2, 0x33145c00
	v_mul_f64 v[84:85], v[40:41], s[2:3]
	v_add_f64 v[90:91], v[44:45], v[84:85]
	v_fma_f64 v[86:87], s[2:3], v[40:41], v[44:45]
	s_mov_b32 s3, 0x3c91a626
	v_add_f64 v[44:45], v[44:45], -v[90:91]
	v_fma_f64 v[88:89], s[2:3], v[40:41], v[84:85]
	v_add_f64 v[44:45], v[44:45], v[84:85]
	v_add_f64 v[84:85], v[90:91], -v[86:87]
	v_add_f64 v[44:45], v[84:85], v[44:45]
	s_mov_b32 s2, 0x252049c0
	v_add_f64 v[44:45], v[44:45], -v[88:89]
	s_mov_b32 s3, 0xb97b839a
	v_fmac_f64_e32 v[44:45], s[2:3], v[40:41]
	v_add_f64 v[84:85], v[86:87], v[44:45]
	v_add_f64 v[86:87], v[84:85], -v[86:87]
	v_add_f64 v[86:87], v[44:45], -v[86:87]
	v_cvt_i32_f64_e32 v20, v[40:41]
.LBB1_40:
	s_or_b64 exec, exec, s[0:1]
	s_mov_b32 s0, 0x7f3321d2
	s_mov_b32 s1, 0x3fa2d97c
	v_mul_f64 v[92:93], v[62:63], s[0:1]
	s_mov_b32 s0, 0
	s_mov_b32 s1, 0x41d00000
	v_cmp_ngt_f64_e32 vcc, s[0:1], v[92:93]
	v_trig_preop_f64 v[94:95], v[92:93], 0
	v_trig_preop_f64 v[90:91], v[92:93], 1
	;; [unrolled: 1-line block ×3, first 2 shown]
                                        ; implicit-def: $vgpr44
                                        ; implicit-def: $vgpr98_vgpr99
                                        ; implicit-def: $vgpr104_vgpr105
	s_and_saveexec_b64 s[0:1], vcc
	s_xor_b64 s[4:5], exec, s[0:1]
	s_cbranch_execz .LBB1_42
; %bb.41:
	s_mov_b32 s0, 0
	s_mov_b32 s1, 0x7b000000
	s_movk_i32 s2, 0xff80
	v_ldexp_f64 v[44:45], v[92:93], s2
	v_cmp_le_f64_e64 s[0:1], s[0:1], v[92:93]
	v_mov_b32_e32 v2, 0x40100000
	s_nop 0
	v_cndmask_b32_e64 v45, v93, v45, s[0:1]
	v_cndmask_b32_e64 v44, v92, v44, s[0:1]
	v_mul_f64 v[98:99], v[94:95], v[44:45]
	v_mul_f64 v[96:97], v[90:91], v[44:45]
	v_fma_f64 v[100:101], v[94:95], v[44:45], -v[98:99]
	v_add_f64 v[102:103], v[96:97], v[100:101]
	v_add_f64 v[110:111], v[102:103], -v[96:97]
	v_add_f64 v[100:101], v[100:101], -v[110:111]
	;; [unrolled: 1-line block ×4, first 2 shown]
	v_add_f64 v[100:101], v[100:101], v[110:111]
	v_fma_f64 v[96:97], v[90:91], v[44:45], -v[96:97]
	v_mul_f64 v[110:111], v[88:89], v[44:45]
	v_add_f64 v[112:113], v[110:111], v[96:97]
	v_add_f64 v[104:105], v[98:99], v[102:103]
	;; [unrolled: 1-line block ×3, first 2 shown]
	v_ldexp_f64 v[106:107], v[104:105], -2
	v_add_f64 v[98:99], v[104:105], -v[98:99]
	v_add_f64 v[104:105], v[114:115], -v[112:113]
	;; [unrolled: 1-line block ×5, first 2 shown]
	v_add_f64 v[100:101], v[100:101], v[104:105]
	v_add_f64 v[104:105], v[112:113], -v[110:111]
	v_add_f64 v[96:97], v[96:97], -v[104:105]
	;; [unrolled: 1-line block ×5, first 2 shown]
	v_add_f64 v[96:97], v[96:97], v[104:105]
	s_mov_b32 s0, 0
	v_fract_f64_e32 v[108:109], v[106:107]
	v_add_f64 v[102:103], v[98:99], v[114:115]
	v_add_f64 v[96:97], v[96:97], v[100:101]
	v_fma_f64 v[44:45], v[88:89], v[44:45], -v[110:111]
	s_mov_b32 s1, 0x7ff00000
	v_add_f64 v[98:99], v[102:103], -v[98:99]
	v_add_f64 v[44:45], v[44:45], v[96:97]
	v_ldexp_f64 v[96:97], v[108:109], 2
	v_cmp_neq_f64_e64 s[0:1], |v[106:107]|, s[0:1]
	v_add_f64 v[98:99], v[114:115], -v[98:99]
	v_add_f64 v[44:45], v[98:99], v[44:45]
	v_cndmask_b32_e64 v97, 0, v97, s[0:1]
	v_cndmask_b32_e64 v96, 0, v96, s[0:1]
	v_add_f64 v[98:99], v[102:103], v[96:97]
	v_cmp_gt_f64_e64 s[0:1], 0, v[98:99]
	v_mov_b32_e32 v98, 0
	s_nop 0
	v_cndmask_b32_e64 v99, 0, v2, s[0:1]
	v_add_f64 v[96:97], v[96:97], v[98:99]
	v_add_f64 v[100:101], v[102:103], v[96:97]
	v_cvt_i32_f64_e32 v2, v[100:101]
	v_cvt_f64_i32_e32 v[100:101], v2
	v_add_f64 v[96:97], v[96:97], -v[100:101]
	v_add_f64 v[100:101], v[102:103], v[96:97]
	v_add_f64 v[96:97], v[100:101], -v[96:97]
	v_add_f64 v[96:97], v[102:103], -v[96:97]
	v_cmp_le_f64_e64 s[0:1], 0.5, v[100:101]
	v_add_f64 v[96:97], v[44:45], v[96:97]
	s_nop 0
	v_addc_co_u32_e64 v44, s[2:3], 0, v2, s[0:1]
	v_mov_b32_e32 v2, 0x3ff00000
	v_cndmask_b32_e64 v99, 0, v2, s[0:1]
	v_add_f64 v[98:99], v[100:101], -v[98:99]
	s_mov_b32 s0, 0x54442d18
	v_add_f64 v[100:101], v[98:99], v[96:97]
	s_mov_b32 s1, 0x3ff921fb
	v_mul_f64 v[102:103], v[100:101], s[0:1]
	s_mov_b32 s2, 0x33145c07
	v_add_f64 v[98:99], v[100:101], -v[98:99]
	v_fma_f64 v[104:105], v[100:101], s[0:1], -v[102:103]
	s_mov_b32 s3, 0x3c91a626
	v_add_f64 v[96:97], v[96:97], -v[98:99]
	v_fmac_f64_e32 v[104:105], s[2:3], v[100:101]
	v_fmac_f64_e32 v[104:105], s[0:1], v[96:97]
	v_add_f64 v[98:99], v[102:103], v[104:105]
	v_add_f64 v[96:97], v[98:99], -v[102:103]
	v_add_f64 v[104:105], v[104:105], -v[96:97]
	s_andn2_saveexec_b64 s[0:1], s[4:5]
	s_cbranch_execz .LBB1_44
	s_branch .LBB1_43
.LBB1_42:
	s_andn2_saveexec_b64 s[0:1], s[4:5]
	s_cbranch_execz .LBB1_44
.LBB1_43:
	s_mov_b32 s2, 0x6dc9c883
	s_mov_b32 s3, 0x3fe45f30
	v_mul_f64 v[44:45], v[92:93], s[2:3]
	s_mov_b32 s2, 0x54442d18
	v_rndne_f64_e32 v[44:45], v[44:45]
	s_mov_b32 s3, 0xbff921fb
	v_fma_f64 v[96:97], s[2:3], v[44:45], v[92:93]
	s_mov_b32 s3, 0xbc91a626
	s_mov_b32 s2, 0x33145c00
	v_mul_f64 v[98:99], v[44:45], s[2:3]
	v_add_f64 v[104:105], v[96:97], v[98:99]
	v_fma_f64 v[100:101], s[2:3], v[44:45], v[96:97]
	s_mov_b32 s3, 0x3c91a626
	v_add_f64 v[96:97], v[96:97], -v[104:105]
	v_fma_f64 v[102:103], s[2:3], v[44:45], v[98:99]
	v_add_f64 v[96:97], v[96:97], v[98:99]
	v_add_f64 v[98:99], v[104:105], -v[100:101]
	v_add_f64 v[96:97], v[98:99], v[96:97]
	s_mov_b32 s2, 0x252049c0
	v_add_f64 v[96:97], v[96:97], -v[102:103]
	s_mov_b32 s3, 0xb97b839a
	v_fmac_f64_e32 v[96:97], s[2:3], v[44:45]
	v_add_f64 v[98:99], v[100:101], v[96:97]
	v_add_f64 v[100:101], v[98:99], -v[100:101]
	v_add_f64 v[104:105], v[96:97], -v[100:101]
	v_cvt_i32_f64_e32 v44, v[44:45]
.LBB1_44:
	s_or_b64 exec, exec, s[0:1]
                                        ; implicit-def: $vgpr45
                                        ; implicit-def: $vgpr106_vgpr107
                                        ; implicit-def: $vgpr108_vgpr109
	s_and_saveexec_b64 s[0:1], vcc
	s_xor_b64 s[2:3], exec, s[0:1]
	s_cbranch_execz .LBB1_46
; %bb.45:
	s_mov_b32 s0, 0
	s_mov_b32 s1, 0x7b000000
	s_movk_i32 s4, 0xff80
	v_ldexp_f64 v[96:97], v[92:93], s4
	v_cmp_le_f64_e32 vcc, s[0:1], v[92:93]
	s_mov_b32 s0, 0
	s_mov_b32 s1, 0x7ff00000
	v_cndmask_b32_e32 v97, v93, v97, vcc
	v_cndmask_b32_e32 v96, v92, v96, vcc
	v_mul_f64 v[102:103], v[94:95], v[96:97]
	v_mul_f64 v[100:101], v[90:91], v[96:97]
	v_fma_f64 v[94:95], v[94:95], v[96:97], -v[102:103]
	v_add_f64 v[106:107], v[100:101], v[94:95]
	v_add_f64 v[114:115], v[106:107], -v[100:101]
	v_add_f64 v[94:95], v[94:95], -v[114:115]
	;; [unrolled: 1-line block ×4, first 2 shown]
	v_fma_f64 v[90:91], v[90:91], v[96:97], -v[100:101]
	v_mul_f64 v[100:101], v[88:89], v[96:97]
	v_add_f64 v[94:95], v[94:95], v[114:115]
	v_add_f64 v[114:115], v[100:101], v[90:91]
	;; [unrolled: 1-line block ×4, first 2 shown]
	v_ldexp_f64 v[110:111], v[108:109], -2
	v_add_f64 v[102:103], v[108:109], -v[102:103]
	v_add_f64 v[108:109], v[116:117], -v[114:115]
	;; [unrolled: 1-line block ×5, first 2 shown]
	v_add_f64 v[94:95], v[94:95], v[108:109]
	v_add_f64 v[108:109], v[114:115], -v[100:101]
	v_add_f64 v[90:91], v[90:91], -v[108:109]
	;; [unrolled: 1-line block ×4, first 2 shown]
	v_add_f64 v[90:91], v[90:91], v[108:109]
	v_fract_f64_e32 v[112:113], v[110:111]
	v_add_f64 v[90:91], v[90:91], v[94:95]
	v_fma_f64 v[88:89], v[88:89], v[96:97], -v[100:101]
	v_add_f64 v[102:103], v[106:107], -v[102:103]
	v_add_f64 v[88:89], v[88:89], v[90:91]
	v_ldexp_f64 v[90:91], v[112:113], 2
	v_cmp_neq_f64_e64 vcc, |v[110:111]|, s[0:1]
	v_add_f64 v[106:107], v[102:103], v[116:117]
	v_mov_b32_e32 v2, 0x40100000
	v_cndmask_b32_e32 v91, 0, v91, vcc
	v_cndmask_b32_e32 v90, 0, v90, vcc
	v_add_f64 v[94:95], v[106:107], v[90:91]
	v_cmp_gt_f64_e32 vcc, 0, v[94:95]
	v_mov_b32_e32 v94, 0
	v_add_f64 v[102:103], v[106:107], -v[102:103]
	v_cndmask_b32_e32 v95, 0, v2, vcc
	v_add_f64 v[90:91], v[90:91], v[94:95]
	v_add_f64 v[96:97], v[106:107], v[90:91]
	v_cvt_i32_f64_e32 v2, v[96:97]
	v_cvt_f64_i32_e32 v[96:97], v2
	v_add_f64 v[90:91], v[90:91], -v[96:97]
	v_add_f64 v[96:97], v[106:107], v[90:91]
	v_cmp_le_f64_e32 vcc, 0.5, v[96:97]
	v_add_f64 v[102:103], v[116:117], -v[102:103]
	v_add_f64 v[90:91], v[96:97], -v[90:91]
	v_addc_co_u32_e64 v45, s[0:1], 0, v2, vcc
	v_mov_b32_e32 v2, 0x3ff00000
	v_add_f64 v[88:89], v[102:103], v[88:89]
	v_add_f64 v[90:91], v[106:107], -v[90:91]
	v_cndmask_b32_e32 v95, 0, v2, vcc
	v_add_f64 v[88:89], v[88:89], v[90:91]
	v_add_f64 v[90:91], v[96:97], -v[94:95]
	v_add_f64 v[94:95], v[90:91], v[88:89]
	s_mov_b32 s0, 0x54442d18
	v_add_f64 v[90:91], v[94:95], -v[90:91]
	s_mov_b32 s1, 0x3ff921fb
	v_add_f64 v[88:89], v[88:89], -v[90:91]
	v_mul_f64 v[90:91], v[94:95], s[0:1]
	s_mov_b32 s4, 0x33145c07
	v_fma_f64 v[96:97], v[94:95], s[0:1], -v[90:91]
	s_mov_b32 s5, 0x3c91a626
	v_fmac_f64_e32 v[96:97], s[4:5], v[94:95]
	v_fmac_f64_e32 v[96:97], s[0:1], v[88:89]
	v_add_f64 v[106:107], v[90:91], v[96:97]
	v_add_f64 v[88:89], v[106:107], -v[90:91]
	v_add_f64 v[108:109], v[96:97], -v[88:89]
	s_andn2_saveexec_b64 s[0:1], s[2:3]
	s_cbranch_execnz .LBB1_47
	s_branch .LBB1_48
.LBB1_46:
	s_andn2_saveexec_b64 s[0:1], s[2:3]
	s_cbranch_execz .LBB1_48
.LBB1_47:
	s_mov_b32 s2, 0x6dc9c883
	s_mov_b32 s3, 0x3fe45f30
	v_mul_f64 v[88:89], v[92:93], s[2:3]
	s_mov_b32 s2, 0x54442d18
	v_rndne_f64_e32 v[88:89], v[88:89]
	s_mov_b32 s3, 0xbff921fb
	v_fma_f64 v[90:91], s[2:3], v[88:89], v[92:93]
	s_mov_b32 s3, 0xbc91a626
	s_mov_b32 s2, 0x33145c00
	v_mul_f64 v[96:97], v[88:89], s[2:3]
	v_add_f64 v[102:103], v[90:91], v[96:97]
	v_fma_f64 v[94:95], s[2:3], v[88:89], v[90:91]
	s_mov_b32 s3, 0x3c91a626
	v_add_f64 v[90:91], v[90:91], -v[102:103]
	v_fma_f64 v[100:101], s[2:3], v[88:89], v[96:97]
	v_add_f64 v[90:91], v[90:91], v[96:97]
	v_add_f64 v[96:97], v[102:103], -v[94:95]
	v_add_f64 v[90:91], v[96:97], v[90:91]
	s_mov_b32 s2, 0x252049c0
	v_add_f64 v[90:91], v[90:91], -v[100:101]
	s_mov_b32 s3, 0xb97b839a
	v_fmac_f64_e32 v[90:91], s[2:3], v[88:89]
	v_add_f64 v[106:107], v[94:95], v[90:91]
	v_add_f64 v[94:95], v[106:107], -v[94:95]
	v_add_f64 v[108:109], v[90:91], -v[94:95]
	v_cvt_i32_f64_e32 v45, v[88:89]
.LBB1_48:
	s_or_b64 exec, exec, s[0:1]
	s_mov_b32 s0, 0xe9bba775
	s_mov_b32 s1, 0x3fb5fdbb
	v_mul_f64 v[62:63], v[62:63], s[0:1]
	s_mov_b32 s0, 0
	s_mov_b32 s1, 0x41d00000
	v_cmp_ngt_f64_e32 vcc, s[0:1], v[62:63]
	v_trig_preop_f64 v[110:111], v[62:63], 0
	v_trig_preop_f64 v[102:103], v[62:63], 1
	;; [unrolled: 1-line block ×3, first 2 shown]
                                        ; implicit-def: $vgpr52
                                        ; implicit-def: $vgpr88_vgpr89
                                        ; implicit-def: $vgpr90_vgpr91
	s_and_saveexec_b64 s[0:1], vcc
	s_xor_b64 s[4:5], exec, s[0:1]
	s_cbranch_execz .LBB1_50
; %bb.49:
	s_mov_b32 s0, 0
	s_mov_b32 s1, 0x7b000000
	s_movk_i32 s2, 0xff80
	v_ldexp_f64 v[88:89], v[62:63], s2
	v_cmp_le_f64_e64 s[0:1], s[0:1], v[62:63]
	v_mov_b32_e32 v2, 0x40100000
	s_nop 0
	v_cndmask_b32_e64 v89, v63, v89, s[0:1]
	v_cndmask_b32_e64 v88, v62, v88, s[0:1]
	v_mul_f64 v[94:95], v[110:111], v[88:89]
	v_mul_f64 v[90:91], v[102:103], v[88:89]
	v_fma_f64 v[96:97], v[110:111], v[88:89], -v[94:95]
	v_add_f64 v[112:113], v[90:91], v[96:97]
	v_add_f64 v[120:121], v[112:113], -v[90:91]
	v_add_f64 v[96:97], v[96:97], -v[120:121]
	;; [unrolled: 1-line block ×4, first 2 shown]
	v_add_f64 v[114:115], v[94:95], v[112:113]
	v_add_f64 v[96:97], v[96:97], v[120:121]
	v_fma_f64 v[90:91], v[102:103], v[88:89], -v[90:91]
	v_mul_f64 v[120:121], v[100:101], v[88:89]
	v_add_f64 v[122:123], v[120:121], v[90:91]
	v_add_f64 v[94:95], v[114:115], -v[94:95]
	v_add_f64 v[50:51], v[122:123], v[96:97]
	v_add_f64 v[94:95], v[112:113], -v[94:95]
	v_add_f64 v[112:113], v[94:95], v[50:51]
	v_ldexp_f64 v[116:117], v[114:115], -2
	v_add_f64 v[94:95], v[112:113], -v[94:95]
	v_add_f64 v[114:115], v[50:51], -v[122:123]
	;; [unrolled: 1-line block ×6, first 2 shown]
	v_add_f64 v[50:51], v[96:97], v[50:51]
	v_add_f64 v[96:97], v[122:123], -v[120:121]
	v_add_f64 v[90:91], v[90:91], -v[96:97]
	;; [unrolled: 1-line block ×4, first 2 shown]
	v_add_f64 v[90:91], v[90:91], v[96:97]
	s_mov_b32 s0, 0
	v_fract_f64_e32 v[118:119], v[116:117]
	v_add_f64 v[50:51], v[90:91], v[50:51]
	v_fma_f64 v[88:89], v[100:101], v[88:89], -v[120:121]
	s_mov_b32 s1, 0x7ff00000
	v_add_f64 v[50:51], v[88:89], v[50:51]
	v_ldexp_f64 v[88:89], v[118:119], 2
	v_cmp_neq_f64_e64 s[0:1], |v[116:117]|, s[0:1]
	v_add_f64 v[50:51], v[94:95], v[50:51]
	s_nop 0
	v_cndmask_b32_e64 v89, 0, v89, s[0:1]
	v_cndmask_b32_e64 v88, 0, v88, s[0:1]
	v_add_f64 v[90:91], v[112:113], v[88:89]
	v_cmp_gt_f64_e64 s[0:1], 0, v[90:91]
	v_mov_b32_e32 v90, 0
	s_nop 0
	v_cndmask_b32_e64 v91, 0, v2, s[0:1]
	v_add_f64 v[88:89], v[88:89], v[90:91]
	v_add_f64 v[94:95], v[112:113], v[88:89]
	v_cvt_i32_f64_e32 v2, v[94:95]
	v_cvt_f64_i32_e32 v[94:95], v2
	v_add_f64 v[88:89], v[88:89], -v[94:95]
	v_add_f64 v[94:95], v[112:113], v[88:89]
	v_cmp_le_f64_e64 s[0:1], 0.5, v[94:95]
	v_add_f64 v[88:89], v[94:95], -v[88:89]
	v_add_f64 v[88:89], v[112:113], -v[88:89]
	v_addc_co_u32_e64 v52, s[2:3], 0, v2, s[0:1]
	v_mov_b32_e32 v2, 0x3ff00000
	v_cndmask_b32_e64 v91, 0, v2, s[0:1]
	v_add_f64 v[50:51], v[50:51], v[88:89]
	v_add_f64 v[88:89], v[94:95], -v[90:91]
	s_mov_b32 s0, 0x54442d18
	v_add_f64 v[90:91], v[88:89], v[50:51]
	s_mov_b32 s1, 0x3ff921fb
	v_mul_f64 v[94:95], v[90:91], s[0:1]
	s_mov_b32 s2, 0x33145c07
	v_add_f64 v[88:89], v[90:91], -v[88:89]
	v_fma_f64 v[96:97], v[90:91], s[0:1], -v[94:95]
	s_mov_b32 s3, 0x3c91a626
	v_add_f64 v[50:51], v[50:51], -v[88:89]
	v_fmac_f64_e32 v[96:97], s[2:3], v[90:91]
	v_fmac_f64_e32 v[96:97], s[0:1], v[50:51]
	v_add_f64 v[88:89], v[94:95], v[96:97]
	v_add_f64 v[50:51], v[88:89], -v[94:95]
	v_add_f64 v[90:91], v[96:97], -v[50:51]
	s_andn2_saveexec_b64 s[0:1], s[4:5]
	s_cbranch_execz .LBB1_52
	s_branch .LBB1_51
.LBB1_50:
	s_andn2_saveexec_b64 s[0:1], s[4:5]
	s_cbranch_execz .LBB1_52
.LBB1_51:
	s_mov_b32 s2, 0x6dc9c883
	s_mov_b32 s3, 0x3fe45f30
	v_mul_f64 v[50:51], v[62:63], s[2:3]
	s_mov_b32 s2, 0x54442d18
	v_rndne_f64_e32 v[50:51], v[50:51]
	s_mov_b32 s3, 0xbff921fb
	v_fma_f64 v[88:89], s[2:3], v[50:51], v[62:63]
	s_mov_b32 s3, 0xbc91a626
	s_mov_b32 s2, 0x33145c00
	v_mul_f64 v[94:95], v[50:51], s[2:3]
	v_add_f64 v[112:113], v[88:89], v[94:95]
	v_fma_f64 v[90:91], s[2:3], v[50:51], v[88:89]
	s_mov_b32 s3, 0x3c91a626
	v_add_f64 v[88:89], v[88:89], -v[112:113]
	v_fma_f64 v[96:97], s[2:3], v[50:51], v[94:95]
	v_add_f64 v[88:89], v[88:89], v[94:95]
	v_add_f64 v[94:95], v[112:113], -v[90:91]
	v_add_f64 v[88:89], v[94:95], v[88:89]
	s_mov_b32 s2, 0x252049c0
	v_add_f64 v[94:95], v[88:89], -v[96:97]
	s_mov_b32 s3, 0xb97b839a
	v_fmac_f64_e32 v[94:95], s[2:3], v[50:51]
	v_add_f64 v[88:89], v[90:91], v[94:95]
	v_add_f64 v[90:91], v[88:89], -v[90:91]
	v_add_f64 v[90:91], v[94:95], -v[90:91]
	v_cvt_i32_f64_e32 v52, v[50:51]
.LBB1_52:
	s_or_b64 exec, exec, s[0:1]
                                        ; implicit-def: $vgpr53
                                        ; implicit-def: $vgpr94_vgpr95
                                        ; implicit-def: $vgpr96_vgpr97
	s_and_saveexec_b64 s[0:1], vcc
	s_xor_b64 s[2:3], exec, s[0:1]
	s_cbranch_execz .LBB1_54
; %bb.53:
	s_mov_b32 s0, 0
	s_mov_b32 s1, 0x7b000000
	s_movk_i32 s4, 0xff80
	v_ldexp_f64 v[50:51], v[62:63], s4
	v_cmp_le_f64_e32 vcc, s[0:1], v[62:63]
	s_mov_b32 s0, 0
	s_mov_b32 s1, 0x7ff00000
	v_cndmask_b32_e32 v51, v63, v51, vcc
	v_cndmask_b32_e32 v50, v62, v50, vcc
	v_mul_f64 v[96:97], v[110:111], v[50:51]
	v_mul_f64 v[94:95], v[102:103], v[50:51]
	v_fma_f64 v[110:111], v[110:111], v[50:51], -v[96:97]
	v_add_f64 v[112:113], v[94:95], v[110:111]
	v_add_f64 v[120:121], v[112:113], -v[94:95]
	v_add_f64 v[110:111], v[110:111], -v[120:121]
	;; [unrolled: 1-line block ×4, first 2 shown]
	v_fma_f64 v[94:95], v[102:103], v[50:51], -v[94:95]
	v_mul_f64 v[102:103], v[100:101], v[50:51]
	v_add_f64 v[110:111], v[110:111], v[120:121]
	v_add_f64 v[120:121], v[102:103], v[94:95]
	;; [unrolled: 1-line block ×4, first 2 shown]
	v_ldexp_f64 v[116:117], v[114:115], -2
	v_add_f64 v[96:97], v[114:115], -v[96:97]
	v_add_f64 v[114:115], v[122:123], -v[120:121]
	;; [unrolled: 1-line block ×5, first 2 shown]
	v_add_f64 v[110:111], v[110:111], v[114:115]
	v_add_f64 v[114:115], v[120:121], -v[102:103]
	v_add_f64 v[94:95], v[94:95], -v[114:115]
	;; [unrolled: 1-line block ×5, first 2 shown]
	v_add_f64 v[94:95], v[94:95], v[114:115]
	v_fract_f64_e32 v[118:119], v[116:117]
	v_add_f64 v[112:113], v[96:97], v[122:123]
	v_add_f64 v[94:95], v[94:95], v[110:111]
	v_fma_f64 v[50:51], v[100:101], v[50:51], -v[102:103]
	v_add_f64 v[96:97], v[112:113], -v[96:97]
	v_add_f64 v[50:51], v[50:51], v[94:95]
	v_ldexp_f64 v[94:95], v[118:119], 2
	v_cmp_neq_f64_e64 vcc, |v[116:117]|, s[0:1]
	v_add_f64 v[96:97], v[122:123], -v[96:97]
	v_add_f64 v[50:51], v[96:97], v[50:51]
	v_cndmask_b32_e32 v95, 0, v95, vcc
	v_cndmask_b32_e32 v94, 0, v94, vcc
	v_add_f64 v[96:97], v[112:113], v[94:95]
	v_mov_b32_e32 v2, 0x40100000
	v_cmp_gt_f64_e32 vcc, 0, v[96:97]
	v_mov_b32_e32 v96, 0
	s_mov_b32 s4, 0x33145c07
	v_cndmask_b32_e32 v97, 0, v2, vcc
	v_add_f64 v[94:95], v[94:95], v[96:97]
	v_add_f64 v[100:101], v[112:113], v[94:95]
	v_cvt_i32_f64_e32 v2, v[100:101]
	v_cvt_f64_i32_e32 v[100:101], v2
	v_add_f64 v[94:95], v[94:95], -v[100:101]
	v_add_f64 v[100:101], v[112:113], v[94:95]
	v_cmp_le_f64_e32 vcc, 0.5, v[100:101]
	v_add_f64 v[94:95], v[100:101], -v[94:95]
	v_add_f64 v[94:95], v[112:113], -v[94:95]
	v_addc_co_u32_e64 v53, s[0:1], 0, v2, vcc
	v_mov_b32_e32 v2, 0x3ff00000
	v_cndmask_b32_e32 v97, 0, v2, vcc
	v_add_f64 v[50:51], v[50:51], v[94:95]
	v_add_f64 v[94:95], v[100:101], -v[96:97]
	s_mov_b32 s0, 0x54442d18
	v_add_f64 v[96:97], v[94:95], v[50:51]
	s_mov_b32 s1, 0x3ff921fb
	v_mul_f64 v[100:101], v[96:97], s[0:1]
	v_add_f64 v[94:95], v[96:97], -v[94:95]
	v_fma_f64 v[102:103], v[96:97], s[0:1], -v[100:101]
	s_mov_b32 s5, 0x3c91a626
	v_add_f64 v[50:51], v[50:51], -v[94:95]
	v_fmac_f64_e32 v[102:103], s[4:5], v[96:97]
	v_fmac_f64_e32 v[102:103], s[0:1], v[50:51]
	v_add_f64 v[94:95], v[100:101], v[102:103]
	v_add_f64 v[50:51], v[94:95], -v[100:101]
	v_add_f64 v[96:97], v[102:103], -v[50:51]
	s_andn2_saveexec_b64 s[0:1], s[2:3]
	s_cbranch_execnz .LBB1_55
	s_branch .LBB1_56
.LBB1_54:
	s_andn2_saveexec_b64 s[0:1], s[2:3]
	s_cbranch_execz .LBB1_56
.LBB1_55:
	s_mov_b32 s2, 0x6dc9c883
	s_mov_b32 s3, 0x3fe45f30
	v_mul_f64 v[50:51], v[62:63], s[2:3]
	s_mov_b32 s2, 0x54442d18
	v_rndne_f64_e32 v[50:51], v[50:51]
	s_mov_b32 s3, 0xbff921fb
	v_fma_f64 v[94:95], s[2:3], v[50:51], v[62:63]
	s_mov_b32 s3, 0xbc91a626
	s_mov_b32 s2, 0x33145c00
	v_mul_f64 v[100:101], v[50:51], s[2:3]
	v_add_f64 v[110:111], v[94:95], v[100:101]
	v_fma_f64 v[96:97], s[2:3], v[50:51], v[94:95]
	s_mov_b32 s3, 0x3c91a626
	v_add_f64 v[94:95], v[94:95], -v[110:111]
	v_fma_f64 v[102:103], s[2:3], v[50:51], v[100:101]
	v_add_f64 v[94:95], v[94:95], v[100:101]
	v_add_f64 v[100:101], v[110:111], -v[96:97]
	v_add_f64 v[94:95], v[100:101], v[94:95]
	s_mov_b32 s2, 0x252049c0
	v_add_f64 v[100:101], v[94:95], -v[102:103]
	s_mov_b32 s3, 0xb97b839a
	v_fmac_f64_e32 v[100:101], s[2:3], v[50:51]
	v_add_f64 v[94:95], v[96:97], v[100:101]
	v_add_f64 v[96:97], v[94:95], -v[96:97]
	v_add_f64 v[96:97], v[100:101], -v[96:97]
	v_cvt_i32_f64_e32 v53, v[50:51]
.LBB1_56:
	s_or_b64 exec, exec, s[0:1]
	v_mov_b64_e32 v[72:73], v[124:125]
	v_mov_b64_e32 v[74:75], v[126:127]
	scratch_load_dwordx4 v[124:127], off, off offset:28 ; 16-byte Folded Reload
	v_mul_f64 v[50:51], v[98:99], v[98:99]
	v_mul_f64 v[100:101], v[50:51], 0.5
	v_add_f64 v[110:111], -v[100:101], 1.0
	s_mov_b32 s0, 0x9037ab78
	v_add_f64 v[102:103], -v[110:111], 1.0
	s_mov_b32 s1, 0x3e21eeb6
	s_mov_b32 s2, 0x46cc5e42
	v_add_f64 v[102:103], v[102:103], -v[100:101]
	s_mov_b32 s3, 0xbda907db
	s_mov_b32 s4, 0xa17f65f6
	v_mov_b64_e32 v[100:101], s[0:1]
	s_mov_b32 s5, 0xbe927e4f
	v_fma_f64 v[112:113], s[2:3], v[50:51], v[100:101]
	s_mov_b32 s8, 0x19f4ec90
	v_fma_f64 v[112:113], v[50:51], v[112:113], s[4:5]
	s_mov_b32 s9, 0x3efa01a0
	s_mov_b32 s10, 0x16c16967
	v_fma_f64 v[112:113], v[50:51], v[112:113], s[8:9]
	s_mov_b32 s11, 0xbf56c16c
	;; [unrolled: 3-line block ×3, first 2 shown]
	s_mov_b32 s0, 0xb42fdfa7
	v_fma_f64 v[112:113], v[50:51], v[112:113], s[12:13]
	v_fma_f64 v[54:55], v[98:99], -v[104:105], v[102:103]
	v_mul_f64 v[102:103], v[50:51], v[50:51]
	s_mov_b32 s1, 0xbe5ae600
	s_mov_b32 s14, 0xf9a43bb8
	v_fmac_f64_e32 v[54:55], v[102:103], v[112:113]
	s_mov_b32 s15, 0x3de5e0b2
	s_mov_b32 s16, 0x796cde01
	v_mov_b64_e32 v[102:103], s[0:1]
	s_mov_b32 s17, 0x3ec71de3
	v_fma_f64 v[112:113], s[14:15], v[50:51], v[102:103]
	s_mov_b32 s18, 0x19e83e5c
	v_fma_f64 v[112:113], v[50:51], v[112:113], s[16:17]
	s_mov_b32 s19, 0xbf2a01a0
	s_mov_b32 s20, 0x11110bb3
	v_fma_f64 v[112:113], v[50:51], v[112:113], s[18:19]
	s_mov_b32 s21, 0x3f811111
	v_fma_f64 v[112:113], v[50:51], v[112:113], s[20:21]
	v_mul_f64 v[2:3], v[98:99], -v[50:51]
	v_mul_f64 v[4:5], v[104:105], 0.5
	v_fmac_f64_e32 v[4:5], v[2:3], v[112:113]
	v_fma_f64 v[4:5], v[50:51], v[4:5], -v[104:105]
	v_mul_f64 v[50:51], v[106:107], v[106:107]
	v_mul_f64 v[104:105], v[50:51], 0.5
	v_add_f64 v[112:113], -v[104:105], 1.0
	v_add_f64 v[114:115], -v[112:113], 1.0
	v_add_f64 v[104:105], v[114:115], -v[104:105]
	v_fma_f64 v[114:115], s[2:3], v[50:51], v[100:101]
	v_fma_f64 v[114:115], v[50:51], v[114:115], s[4:5]
	;; [unrolled: 1-line block ×5, first 2 shown]
	v_fma_f64 v[104:105], v[106:107], -v[108:109], v[104:105]
	v_mul_f64 v[116:117], v[50:51], v[50:51]
	v_fmac_f64_e32 v[104:105], v[116:117], v[114:115]
	v_fma_f64 v[114:115], s[14:15], v[50:51], v[102:103]
	v_fma_f64 v[114:115], v[50:51], v[114:115], s[16:17]
	;; [unrolled: 1-line block ×4, first 2 shown]
	v_mul_f64 v[116:117], v[106:107], -v[50:51]
	v_mul_f64 v[118:119], v[108:109], 0.5
	v_fmac_f64_e32 v[118:119], v[116:117], v[114:115]
	v_fma_f64 v[50:51], v[50:51], v[118:119], -v[108:109]
	s_mov_b32 s23, 0xbfc55555
	s_mov_b32 s22, s12
	v_fmac_f64_e32 v[50:51], s[22:23], v[116:117]
	v_and_b32_e32 v6, 1, v45
	v_add_f64 v[104:105], v[112:113], v[104:105]
	v_add_f64 v[50:51], v[106:107], -v[50:51]
	v_cmp_eq_u32_e32 vcc, 0, v6
	s_mov_b32 s0, 0x667f3bcd
	s_mov_b32 s1, 0x3fe6a09e
	v_cndmask_b32_e32 v6, v104, v50, vcc
	v_cndmask_b32_e32 v7, v105, v51, vcc
	v_add_f64 v[50:51], v[16:17], -v[72:73]
	v_add_f64 v[104:105], v[18:19], -v[74:75]
	;; [unrolled: 1-line block ×3, first 2 shown]
	v_add_f64 v[118:119], v[50:51], v[104:105]
	s_waitcnt vmcnt(0)
	v_add_f64 v[120:121], v[12:13], -v[124:125]
	v_add_f64 v[50:51], v[14:15], -v[126:127]
	v_fma_f64 v[122:123], v[120:121], 0, -v[50:51]
	v_fmac_f64_e32 v[120:121], 0, v[50:51]
	v_add_f64 v[50:51], v[8:9], -v[32:33]
	v_add_f64 v[104:105], v[10:11], -v[34:35]
	v_add_f64 v[106:107], -v[50:51], -v[104:105]
	v_add_f64 v[50:51], v[50:51], -v[104:105]
	v_mul_f64 v[112:113], v[106:107], s[0:1]
	v_mul_f64 v[114:115], v[50:51], s[0:1]
	v_fmac_f64_e32 v[4:5], s[22:23], v[2:3]
	v_fma_f64 v[104:105], v[116:117], s[0:1], -v[112:113]
	v_fma_f64 v[50:51], v[118:119], s[0:1], -v[114:115]
	v_add_f64 v[2:3], v[98:99], -v[4:5]
	v_and_b32_e32 v4, 1, v44
	v_fma_f64 v[106:107], v[104:105], 0, -v[50:51]
	v_fmac_f64_e32 v[104:105], 0, v[50:51]
	v_add_f64 v[50:51], v[110:111], v[54:55]
	v_cmp_eq_u32_e32 vcc, 0, v4
	v_xor_b32_e32 v3, 0x80000000, v3
	s_mov_b32 s6, 0
	v_lshlrev_b32_e32 v4, 30, v45
	v_cndmask_b32_e32 v3, v3, v51, vcc
	s_mov_b32 s7, 0x7ff00000
	v_xor_b32_e32 v4, v4, v93
	s_brev_b32 s24, 1
	v_lshlrev_b32_e32 v5, 30, v44
	v_add_f64 v[54:55], v[26:27], -v[30:31]
	v_cndmask_b32_e32 v2, v2, v50, vcc
	v_cmp_lg_f64_e32 vcc, s[6:7], v[92:93]
	v_bitop3_b32 v3, v3, v5, s24 bitop3:0x78
	v_mov_b32_e32 v44, 0x7ff80000
	v_bitop3_b32 v5, v7, v4, s24 bitop3:0x78
	v_add_f64 v[50:51], v[24:25], -v[28:29]
	v_add_f64 v[110:111], v[54:55], -v[120:121]
	v_cndmask_b32_e32 v4, 0, v6, vcc
	v_cndmask_b32_e32 v5, v44, v5, vcc
	v_add_f64 v[108:109], v[50:51], -v[122:123]
	v_add_f64 v[6:7], v[110:111], v[104:105]
	v_mov_b64_e32 v[40:41], v[10:11]
	v_cndmask_b32_e32 v2, 0, v2, vcc
	v_cndmask_b32_e32 v3, v44, v3, vcc
	v_add_f64 v[92:93], v[108:109], v[106:107]
	v_mov_b64_e32 v[38:39], v[8:9]
	v_mul_f64 v[8:9], v[6:7], v[4:5]
	v_fma_f64 v[98:99], v[92:93], v[2:3], -v[8:9]
	v_mul_f64 v[92:93], v[92:93], v[4:5]
	v_fmac_f64_e32 v[92:93], v[6:7], v[2:3]
	v_mul_f64 v[2:3], v[80:81], v[80:81]
	v_mul_f64 v[4:5], v[2:3], 0.5
	v_add_f64 v[6:7], -v[4:5], 1.0
	v_add_f64 v[8:9], -v[6:7], 1.0
	v_add_f64 v[4:5], v[8:9], -v[4:5]
	v_fma_f64 v[8:9], s[2:3], v[2:3], v[100:101]
	v_fma_f64 v[8:9], v[2:3], v[8:9], s[4:5]
	;; [unrolled: 1-line block ×5, first 2 shown]
	v_fma_f64 v[4:5], v[80:81], -v[82:83], v[4:5]
	v_mul_f64 v[10:11], v[2:3], v[2:3]
	v_fmac_f64_e32 v[4:5], v[10:11], v[8:9]
	v_fma_f64 v[8:9], s[14:15], v[2:3], v[102:103]
	v_fma_f64 v[8:9], v[2:3], v[8:9], s[16:17]
	v_mov_b64_e32 v[66:67], v[34:35]
	v_fma_f64 v[8:9], v[2:3], v[8:9], s[18:19]
	v_mov_b64_e32 v[64:65], v[32:33]
	v_mov_b64_e32 v[34:35], v[14:15]
	v_fma_f64 v[8:9], v[2:3], v[8:9], s[20:21]
	v_mul_f64 v[10:11], v[80:81], -v[2:3]
	v_mov_b64_e32 v[32:33], v[12:13]
	v_mul_f64 v[12:13], v[82:83], 0.5
	v_fmac_f64_e32 v[12:13], v[10:11], v[8:9]
	v_mul_f64 v[8:9], v[84:85], v[84:85]
	v_fma_f64 v[2:3], v[2:3], v[12:13], -v[82:83]
	v_mul_f64 v[12:13], v[8:9], 0.5
	v_add_f64 v[82:83], -v[12:13], 1.0
	v_add_f64 v[14:15], -v[82:83], 1.0
	v_add_f64 v[12:13], v[14:15], -v[12:13]
	v_fma_f64 v[14:15], s[2:3], v[8:9], v[100:101]
	v_fma_f64 v[14:15], v[8:9], v[14:15], s[4:5]
	;; [unrolled: 1-line block ×4, first 2 shown]
	v_mov_b64_e32 v[60:61], v[18:19]
	v_fma_f64 v[14:15], v[8:9], v[14:15], s[12:13]
	v_fma_f64 v[12:13], v[84:85], -v[86:87], v[12:13]
	v_mov_b64_e32 v[58:59], v[16:17]
	v_mul_f64 v[16:17], v[8:9], v[8:9]
	v_fmac_f64_e32 v[12:13], v[16:17], v[14:15]
	v_fma_f64 v[14:15], s[14:15], v[8:9], v[102:103]
	v_fma_f64 v[14:15], v[8:9], v[14:15], s[16:17]
	;; [unrolled: 1-line block ×4, first 2 shown]
	v_mul_f64 v[16:17], v[84:85], -v[8:9]
	v_mul_f64 v[18:19], v[86:87], 0.5
	v_fmac_f64_e32 v[18:19], v[16:17], v[14:15]
	v_fma_f64 v[8:9], v[8:9], v[18:19], -v[86:87]
	v_fmac_f64_e32 v[8:9], s[22:23], v[16:17]
	v_and_b32_e32 v14, 1, v20
	v_add_f64 v[12:13], v[82:83], v[12:13]
	v_add_f64 v[8:9], v[84:85], -v[8:9]
	v_cmp_eq_u32_e32 vcc, 0, v14
	v_add_f64 v[4:5], v[6:7], v[4:5]
	v_fmac_f64_e32 v[2:3], s[22:23], v[10:11]
	v_and_b32_e32 v6, 1, v21
	v_cndmask_b32_e32 v14, v12, v8, vcc
	v_cndmask_b32_e32 v15, v13, v9, vcc
	v_add_f64 v[2:3], v[80:81], -v[2:3]
	v_cmp_eq_u32_e32 vcc, 0, v6
	v_xor_b32_e32 v3, 0x80000000, v3
	v_add_f64 v[8:9], v[50:51], v[122:123]
	v_cndmask_b32_e32 v2, v2, v4, vcc
	v_lshlrev_b32_e32 v4, 30, v20
	v_cndmask_b32_e32 v3, v3, v5, vcc
	v_xor_b32_e32 v4, v4, v79
	v_lshlrev_b32_e32 v5, 30, v21
	v_add_f64 v[12:13], v[54:55], v[120:121]
	v_fmac_f64_e32 v[112:113], s[0:1], v[116:117]
	v_fmac_f64_e32 v[114:115], s[0:1], v[118:119]
	v_cmp_lg_f64_e32 vcc, s[6:7], v[78:79]
	v_bitop3_b32 v3, v3, v5, s24 bitop3:0x78
	v_bitop3_b32 v5, v15, v4, s24 bitop3:0x78
	v_cndmask_b32_e32 v4, 0, v14, vcc
	v_cndmask_b32_e32 v5, v44, v5, vcc
	v_add_f64 v[6:7], v[8:9], -v[112:113]
	v_add_f64 v[10:11], v[12:13], -v[114:115]
	v_cndmask_b32_e32 v2, 0, v2, vcc
	v_cndmask_b32_e32 v3, v44, v3, vcc
	v_mul_f64 v[14:15], v[10:11], v[4:5]
	v_mul_f64 v[78:79], v[6:7], v[4:5]
	v_fma_f64 v[80:81], v[6:7], v[2:3], -v[14:15]
	v_fmac_f64_e32 v[78:79], v[10:11], v[2:3]
	v_mul_f64 v[2:3], v[70:71], v[70:71]
	v_mul_f64 v[4:5], v[2:3], 0.5
	v_add_f64 v[6:7], -v[4:5], 1.0
	v_add_f64 v[10:11], -v[6:7], 1.0
	v_add_f64 v[4:5], v[10:11], -v[4:5]
	v_fma_f64 v[10:11], s[2:3], v[2:3], v[100:101]
	v_fma_f64 v[10:11], v[2:3], v[10:11], s[4:5]
	;; [unrolled: 1-line block ×5, first 2 shown]
	v_fma_f64 v[4:5], v[70:71], -v[22:23], v[4:5]
	v_mul_f64 v[14:15], v[2:3], v[2:3]
	v_fmac_f64_e32 v[4:5], v[14:15], v[10:11]
	v_fma_f64 v[10:11], s[14:15], v[2:3], v[102:103]
	v_fma_f64 v[10:11], v[2:3], v[10:11], s[16:17]
	;; [unrolled: 1-line block ×4, first 2 shown]
	v_mul_f64 v[14:15], v[70:71], -v[2:3]
	v_mul_f64 v[16:17], v[22:23], 0.5
	v_fmac_f64_e32 v[16:17], v[14:15], v[10:11]
	v_mul_f64 v[10:11], v[42:43], v[42:43]
	v_fma_f64 v[2:3], v[2:3], v[16:17], -v[22:23]
	v_mul_f64 v[16:17], v[10:11], 0.5
	v_add_f64 v[18:19], -v[16:17], 1.0
	v_add_f64 v[20:21], -v[18:19], 1.0
	v_add_f64 v[16:17], v[20:21], -v[16:17]
	v_fma_f64 v[20:21], s[2:3], v[10:11], v[100:101]
	v_fma_f64 v[20:21], v[10:11], v[20:21], s[4:5]
	;; [unrolled: 1-line block ×3, first 2 shown]
	v_fmac_f64_e32 v[2:3], s[22:23], v[14:15]
	v_fma_f64 v[20:21], v[10:11], v[20:21], s[10:11]
	v_add_f64 v[4:5], v[6:7], v[4:5]
	v_add_f64 v[2:3], v[70:71], -v[2:3]
	v_and_b32_e32 v6, 1, v1
	v_fma_f64 v[20:21], v[10:11], v[20:21], s[12:13]
	v_fma_f64 v[16:17], v[42:43], -v[76:77], v[16:17]
	v_mul_f64 v[50:51], v[10:11], v[10:11]
	v_cmp_eq_u32_e32 vcc, 0, v6
	v_xor_b32_e32 v3, 0x80000000, v3
	v_fmac_f64_e32 v[16:17], v[50:51], v[20:21]
	v_cndmask_b32_e32 v20, v2, v4, vcc
	v_cndmask_b32_e32 v21, v3, v5, vcc
	v_fma_f64 v[4:5], s[14:15], v[10:11], v[102:103]
	v_fma_f64 v[4:5], v[10:11], v[4:5], s[16:17]
	;; [unrolled: 1-line block ×4, first 2 shown]
	v_mul_f64 v[6:7], v[42:43], -v[10:11]
	v_mul_f64 v[14:15], v[76:77], 0.5
	v_fmac_f64_e32 v[14:15], v[6:7], v[4:5]
	v_lshlrev_b32_e32 v4, 30, v1
	scratch_load_dword v1, off, off offset:164 ; 4-byte Folded Reload
	v_fma_f64 v[10:11], v[10:11], v[14:15], -v[76:77]
	v_fmac_f64_e32 v[10:11], s[22:23], v[6:7]
	v_add_f64 v[6:7], v[42:43], -v[10:11]
	v_add_f64 v[2:3], v[18:19], v[16:17]
	v_cmp_lg_f64_e32 vcc, s[6:7], v[68:69]
	v_add_f64 v[12:13], v[12:13], v[114:115]
	v_bitop3_b32 v5, v21, v4, s24 bitop3:0x78
	v_add_f64 v[8:9], v[8:9], v[112:113]
	v_cndmask_b32_e32 v4, 0, v20, vcc
	v_cndmask_b32_e32 v5, v44, v5, vcc
	v_add_f64 v[22:23], v[38:39], v[64:65]
	scratch_load_dwordx2 v[38:39], off, off offset:140 ; 8-byte Folded Reload
	v_add_f64 v[20:21], v[40:41], v[66:67]
	v_add_f64 v[14:15], v[24:25], v[28:29]
	;; [unrolled: 1-line block ×3, first 2 shown]
	v_lshlrev_b32_e32 v121, 3, v0
	s_waitcnt vmcnt(1)
	v_and_b32_e32 v10, 1, v1
	v_cmp_eq_u32_e64 s[0:1], 0, v10
	v_add_f64 v[10:11], v[58:59], v[72:73]
	v_add_f64 v[24:25], v[10:11], -v[22:23]
	v_cndmask_b32_e64 v2, v2, v6, s[0:1]
	v_lshlrev_b32_e32 v6, 30, v1
	v_cndmask_b32_e64 v3, v3, v7, s[0:1]
	v_xor_b32_e32 v6, v6, v69
	v_bitop3_b32 v3, v3, v6, s24 bitop3:0x78
	v_cndmask_b32_e32 v2, 0, v2, vcc
	v_cndmask_b32_e32 v3, v44, v3, vcc
	v_mul_f64 v[6:7], v[12:13], v[2:3]
	v_fma_f64 v[70:71], v[8:9], v[4:5], -v[6:7]
	v_mul_f64 v[68:69], v[8:9], v[2:3]
	v_add_f64 v[8:9], v[34:35], v[126:127]
	scratch_load_dword v1, off, off offset:128 ; 4-byte Folded Reload
	scratch_load_dwordx2 v[34:35], off, off offset:132 ; 8-byte Folded Reload
	v_fmac_f64_e32 v[68:69], v[12:13], v[4:5]
	v_add_f64 v[12:13], v[60:61], v[74:75]
	v_add_f64 v[2:3], v[12:13], -v[20:21]
	v_fma_f64 v[26:27], v[24:25], 0, -v[2:3]
	v_fmac_f64_e32 v[24:25], 0, v[2:3]
	v_add_f64 v[6:7], v[32:33], v[124:125]
	v_add_f64 v[18:19], v[30:31], -v[8:9]
	v_add_f64 v[4:5], v[14:15], -v[6:7]
	v_add_f64 v[28:29], v[18:19], -v[24:25]
	v_add_f64 v[16:17], v[4:5], -v[26:27]
	v_add_f64 v[26:27], v[4:5], v[26:27]
	v_add_f64 v[24:25], v[18:19], v[24:25]
	;; [unrolled: 1-line block ×6, first 2 shown]
	v_add_f64 v[14:15], v[6:7], -v[10:11]
	v_add_f64 v[20:21], v[8:9], -v[12:13]
	v_add_f64 v[6:7], v[6:7], v[10:11]
	v_add_f64 v[10:11], v[110:111], -v[104:105]
	s_waitcnt vmcnt(1)
	v_and_b32_e32 v40, 1, v1
	s_waitcnt vmcnt(0)
	v_mul_f64 v[2:3], v[34:35], v[34:35]
	v_mul_f64 v[32:33], v[2:3], 0.5
	v_fma_f64 v[72:73], s[2:3], v[2:3], v[100:101]
	v_add_f64 v[50:51], -v[32:33], 1.0
	v_fma_f64 v[72:73], v[2:3], v[72:73], s[4:5]
	v_fma_f64 v[72:73], v[2:3], v[72:73], s[8:9]
	v_add_f64 v[74:75], -v[50:51], 1.0
	v_fma_f64 v[72:73], v[2:3], v[72:73], s[10:11]
	v_add_f64 v[32:33], v[74:75], -v[32:33]
	v_mul_f64 v[54:55], v[2:3], v[2:3]
	v_fma_f64 v[72:73], v[2:3], v[72:73], s[12:13]
	v_fma_f64 v[32:33], v[34:35], -v[38:39], v[32:33]
	v_fmac_f64_e32 v[32:33], v[54:55], v[72:73]
	v_fma_f64 v[54:55], s[14:15], v[2:3], v[102:103]
	v_fma_f64 v[54:55], v[2:3], v[54:55], s[16:17]
	;; [unrolled: 1-line block ×3, first 2 shown]
	v_add_f64 v[32:33], v[50:51], v[32:33]
	v_mul_f64 v[50:51], v[34:35], -v[2:3]
	v_fma_f64 v[54:55], v[2:3], v[54:55], s[20:21]
	v_mul_f64 v[72:73], v[38:39], 0.5
	v_fmac_f64_e32 v[72:73], v[50:51], v[54:55]
	v_fma_f64 v[2:3], v[2:3], v[72:73], -v[38:39]
	v_fmac_f64_e32 v[2:3], s[22:23], v[50:51]
	v_add_f64 v[2:3], v[34:35], -v[2:3]
	scratch_load_dwordx2 v[34:35], off, off offset:156 ; 8-byte Folded Reload
	v_cmp_eq_u32_e32 vcc, 0, v40
	v_xor_b32_e32 v3, 0x80000000, v3
	scratch_load_dwordx2 v[38:39], off, off offset:84 ; 8-byte Folded Reload
	v_cndmask_b32_e32 v2, v2, v32, vcc
	v_lshlrev_b32_e32 v32, 30, v1
	scratch_load_dword v1, off, off offset:148 ; 4-byte Folded Reload
	v_cndmask_b32_e32 v3, v3, v33, vcc
	v_bitop3_b32 v3, v3, v32, s24 bitop3:0x78
	v_cmp_lg_f64_e32 vcc, s[6:7], v[56:57]
	s_waitcnt vmcnt(0)
	v_and_b32_e32 v40, 1, v1
	v_cndmask_b32_e32 v32, 0, v2, vcc
	v_cndmask_b32_e32 v33, v44, v3, vcc
	v_mul_f64 v[2:3], v[48:49], v[48:49]
	v_mul_f64 v[50:51], v[2:3], 0.5
	v_fma_f64 v[60:61], s[2:3], v[2:3], v[100:101]
	v_add_f64 v[54:55], -v[50:51], 1.0
	v_fma_f64 v[60:61], v[2:3], v[60:61], s[4:5]
	v_add_f64 v[58:59], -v[54:55], 1.0
	v_fma_f64 v[60:61], v[2:3], v[60:61], s[8:9]
	v_add_f64 v[50:51], v[58:59], -v[50:51]
	v_fma_f64 v[60:61], v[2:3], v[60:61], s[10:11]
	v_mul_f64 v[58:59], v[2:3], v[2:3]
	v_fma_f64 v[60:61], v[2:3], v[60:61], s[12:13]
	v_fma_f64 v[50:51], v[48:49], -v[34:35], v[50:51]
	v_fmac_f64_e32 v[50:51], v[58:59], v[60:61]
	v_add_f64 v[50:51], v[54:55], v[50:51]
	v_fma_f64 v[54:55], s[14:15], v[2:3], v[102:103]
	v_fma_f64 v[54:55], v[2:3], v[54:55], s[16:17]
	;; [unrolled: 1-line block ×4, first 2 shown]
	v_mul_f64 v[58:59], v[48:49], -v[2:3]
	v_mul_f64 v[60:61], v[34:35], 0.5
	v_fmac_f64_e32 v[60:61], v[58:59], v[54:55]
	v_fma_f64 v[2:3], v[2:3], v[60:61], -v[34:35]
	scratch_load_dword v34, off, off offset:76 ; 4-byte Folded Reload
	v_cmp_eq_u32_e64 s[0:1], 0, v40
	scratch_load_dwordx2 v[40:41], off, off offset:92 ; 8-byte Folded Reload
	v_fmac_f64_e32 v[2:3], s[22:23], v[58:59]
	v_add_f64 v[2:3], v[48:49], -v[2:3]
	v_lshlrev_b32_e32 v1, 30, v1
	v_cndmask_b32_e64 v3, v51, v3, s[0:1]
	v_xor_b32_e32 v1, v1, v57
	v_cndmask_b32_e64 v2, v50, v2, s[0:1]
	v_bitop3_b32 v1, v3, v1, s24 bitop3:0x78
	v_cndmask_b32_e32 v50, 0, v2, vcc
	v_cndmask_b32_e32 v51, v44, v1, vcc
	v_mul_f64 v[2:3], v[28:29], v[50:51]
	v_mul_f64 v[4:5], v[38:39], v[38:39]
	v_fma_f64 v[2:3], v[16:17], v[32:33], -v[2:3]
	v_mul_f64 v[16:17], v[16:17], v[50:51]
	v_mul_f64 v[18:19], v[4:5], 0.5
	v_fma_f64 v[50:51], s[2:3], v[4:5], v[100:101]
	v_fmac_f64_e32 v[16:17], v[28:29], v[32:33]
	v_add_f64 v[28:29], -v[18:19], 1.0
	v_fma_f64 v[50:51], v[4:5], v[50:51], s[4:5]
	v_fma_f64 v[50:51], v[4:5], v[50:51], s[8:9]
	v_add_f64 v[54:55], -v[28:29], 1.0
	v_fma_f64 v[50:51], v[4:5], v[50:51], s[10:11]
	v_add_f64 v[18:19], v[54:55], -v[18:19]
	v_mul_f64 v[32:33], v[4:5], v[4:5]
	v_fma_f64 v[50:51], v[4:5], v[50:51], s[12:13]
	s_waitcnt vmcnt(1)
	v_and_b32_e32 v1, 1, v34
	v_cmp_eq_u32_e32 vcc, 0, v1
	s_waitcnt vmcnt(0)
	v_fma_f64 v[18:19], v[38:39], -v[40:41], v[18:19]
	v_fmac_f64_e32 v[18:19], v[32:33], v[50:51]
	v_fma_f64 v[32:33], s[14:15], v[4:5], v[102:103]
	v_fma_f64 v[32:33], v[4:5], v[32:33], s[16:17]
	;; [unrolled: 1-line block ×3, first 2 shown]
	v_add_f64 v[18:19], v[28:29], v[18:19]
	v_mul_f64 v[28:29], v[38:39], -v[4:5]
	v_fma_f64 v[32:33], v[4:5], v[32:33], s[20:21]
	v_mul_f64 v[50:51], v[40:41], 0.5
	v_fmac_f64_e32 v[50:51], v[28:29], v[32:33]
	v_fma_f64 v[4:5], v[4:5], v[50:51], -v[40:41]
	v_fmac_f64_e32 v[4:5], s[22:23], v[28:29]
	v_add_f64 v[4:5], v[38:39], -v[4:5]
	v_xor_b32_e32 v5, 0x80000000, v5
	v_cndmask_b32_e32 v1, v4, v18, vcc
	v_cndmask_b32_e32 v4, v5, v19, vcc
	v_lshlrev_b32_e32 v5, 30, v34
	scratch_load_dwordx2 v[34:35], off, off offset:112 ; 8-byte Folded Reload
	scratch_load_dwordx2 v[38:39], off, off offset:120 ; 8-byte Folded Reload
	v_bitop3_b32 v4, v4, v5, s24 bitop3:0x78
	v_cmp_lg_f64_e32 vcc, s[6:7], v[46:47]
	scratch_load_dword v40, off, off offset:8 ; 4-byte Folded Reload
	s_nop 0
	v_cndmask_b32_e32 v29, v44, v4, vcc
	v_cndmask_b32_e32 v28, 0, v1, vcc
	s_waitcnt vmcnt(2)
	v_mul_f64 v[4:5], v[34:35], v[34:35]
	v_mul_f64 v[18:19], v[4:5], 0.5
	v_fma_f64 v[50:51], s[2:3], v[4:5], v[100:101]
	v_add_f64 v[32:33], -v[18:19], 1.0
	v_fma_f64 v[50:51], v[4:5], v[50:51], s[4:5]
	v_add_f64 v[48:49], -v[32:33], 1.0
	v_fma_f64 v[50:51], v[4:5], v[50:51], s[8:9]
	v_add_f64 v[18:19], v[48:49], -v[18:19]
	v_fma_f64 v[50:51], v[4:5], v[50:51], s[10:11]
	v_mul_f64 v[48:49], v[4:5], v[4:5]
	v_fma_f64 v[50:51], v[4:5], v[50:51], s[12:13]
	s_waitcnt vmcnt(1)
	v_fma_f64 v[18:19], v[34:35], -v[38:39], v[18:19]
	v_fmac_f64_e32 v[18:19], v[48:49], v[50:51]
	v_add_f64 v[18:19], v[32:33], v[18:19]
	v_fma_f64 v[32:33], s[14:15], v[4:5], v[102:103]
	v_fma_f64 v[32:33], v[4:5], v[32:33], s[16:17]
	;; [unrolled: 1-line block ×4, first 2 shown]
	v_mul_f64 v[48:49], v[34:35], -v[4:5]
	v_mul_f64 v[50:51], v[38:39], 0.5
	v_fmac_f64_e32 v[50:51], v[48:49], v[32:33]
	scratch_load_dword v32, off, off offset:108 ; 4-byte Folded Reload
	v_fma_f64 v[4:5], v[4:5], v[50:51], -v[38:39]
	v_fmac_f64_e32 v[4:5], s[22:23], v[48:49]
	v_add_f64 v[4:5], v[34:35], -v[4:5]
	scratch_load_dwordx2 v[34:35], off, off offset:20 ; 8-byte Folded Reload
	scratch_load_dwordx2 v[38:39], off, off offset:60 ; 8-byte Folded Reload
	s_waitcnt vmcnt(2)
	v_and_b32_e32 v1, 1, v32
	v_cmp_eq_u32_e64 s[0:1], 0, v1
	s_waitcnt vmcnt(1)
	v_mul_f64 v[22:23], v[34:35], v[34:35]
	v_cndmask_b32_e64 v1, v18, v4, s[0:1]
	v_cndmask_b32_e64 v4, v19, v5, s[0:1]
	v_lshlrev_b32_e32 v5, 30, v32
	v_xor_b32_e32 v5, v5, v47
	v_bitop3_b32 v4, v4, v5, s24 bitop3:0x78
	v_cndmask_b32_e32 v18, 0, v1, vcc
	v_cndmask_b32_e32 v19, v44, v4, vcc
	v_mul_f64 v[4:5], v[24:25], v[18:19]
	v_mul_f64 v[18:19], v[26:27], v[18:19]
	v_fmac_f64_e32 v[18:19], v[24:25], v[28:29]
	v_mul_f64 v[24:25], v[22:23], 0.5
	v_fma_f64 v[4:5], v[26:27], v[28:29], -v[4:5]
	v_add_f64 v[26:27], -v[24:25], 1.0
	v_add_f64 v[32:33], -v[26:27], 1.0
	v_add_f64 v[24:25], v[32:33], -v[24:25]
	scratch_load_dwordx2 v[32:33], off, off offset:12 ; 8-byte Folded Reload
	v_fma_f64 v[30:31], s[2:3], v[22:23], v[100:101]
	v_fma_f64 v[30:31], v[22:23], v[30:31], s[4:5]
	;; [unrolled: 1-line block ×4, first 2 shown]
	v_mul_f64 v[28:29], v[22:23], v[22:23]
	v_fma_f64 v[30:31], v[22:23], v[30:31], s[12:13]
	v_and_b32_e32 v1, 1, v40
	v_cmp_eq_u32_e32 vcc, 0, v1
	s_waitcnt vmcnt(0)
	v_fma_f64 v[24:25], v[34:35], -v[32:33], v[24:25]
	v_fmac_f64_e32 v[24:25], v[28:29], v[30:31]
	v_fma_f64 v[28:29], s[14:15], v[22:23], v[102:103]
	v_fma_f64 v[28:29], v[22:23], v[28:29], s[16:17]
	v_fma_f64 v[28:29], v[22:23], v[28:29], s[18:19]
	v_add_f64 v[24:25], v[26:27], v[24:25]
	v_mul_f64 v[26:27], v[34:35], -v[22:23]
	v_fma_f64 v[28:29], v[22:23], v[28:29], s[20:21]
	v_mul_f64 v[30:31], v[32:33], 0.5
	v_fmac_f64_e32 v[30:31], v[26:27], v[28:29]
	v_fma_f64 v[22:23], v[22:23], v[30:31], -v[32:33]
	v_fmac_f64_e32 v[22:23], s[22:23], v[26:27]
	v_add_f64 v[22:23], v[34:35], -v[22:23]
	scratch_load_dwordx2 v[34:35], off, off offset:52 ; 8-byte Folded Reload
	v_xor_b32_e32 v23, 0x80000000, v23
	v_cndmask_b32_e32 v1, v22, v24, vcc
	v_cndmask_b32_e32 v22, v23, v25, vcc
	v_lshlrev_b32_e32 v23, 30, v40
	v_cmp_lg_f64_e32 vcc, s[6:7], v[36:37]
	v_bitop3_b32 v23, v22, v23, s24 bitop3:0x78
	v_lshrrev_b32_e32 v36, 3, v0
	v_cndmask_b32_e32 v22, 0, v1, vcc
	v_cndmask_b32_e32 v23, v44, v23, vcc
	v_cvt_f64_u32_e32 v[66:67], v36
	s_waitcnt vmcnt(0)
	v_mul_f64 v[24:25], v[34:35], v[34:35]
	v_mul_f64 v[26:27], v[24:25], 0.5
	v_fma_f64 v[32:33], s[2:3], v[24:25], v[100:101]
	v_add_f64 v[28:29], -v[26:27], 1.0
	v_fma_f64 v[32:33], v[24:25], v[32:33], s[4:5]
	v_add_f64 v[30:31], -v[28:29], 1.0
	v_fma_f64 v[32:33], v[24:25], v[32:33], s[8:9]
	v_add_f64 v[26:27], v[30:31], -v[26:27]
	v_fma_f64 v[32:33], v[24:25], v[32:33], s[10:11]
	v_mul_f64 v[30:31], v[24:25], v[24:25]
	v_fma_f64 v[32:33], v[24:25], v[32:33], s[12:13]
	v_fma_f64 v[26:27], v[34:35], -v[38:39], v[26:27]
	v_fmac_f64_e32 v[26:27], v[30:31], v[32:33]
	v_add_f64 v[26:27], v[28:29], v[26:27]
	v_fma_f64 v[28:29], s[14:15], v[24:25], v[102:103]
	v_fma_f64 v[28:29], v[24:25], v[28:29], s[16:17]
	;; [unrolled: 1-line block ×4, first 2 shown]
	v_mul_f64 v[30:31], v[34:35], -v[24:25]
	v_mul_f64 v[32:33], v[38:39], 0.5
	v_fmac_f64_e32 v[32:33], v[30:31], v[28:29]
	scratch_load_dword v28, off, off offset:44 ; 4-byte Folded Reload
	v_fma_f64 v[24:25], v[24:25], v[32:33], -v[38:39]
	v_fmac_f64_e32 v[24:25], s[22:23], v[30:31]
	v_add_f64 v[24:25], v[34:35], -v[24:25]
	ds_write2_b64 v121, v[6:7], v[70:71] offset1:66
	ds_write2_b64 v121, v[4:5], v[98:99] offset0:132 offset1:198
	s_waitcnt vmcnt(0)
	v_and_b32_e32 v1, 1, v28
	v_cmp_eq_u32_e64 s[0:1], 0, v1
	s_nop 1
	v_cndmask_b32_e64 v1, v26, v24, s[0:1]
	v_cndmask_b32_e64 v24, v27, v25, s[0:1]
	v_lshlrev_b32_e32 v25, 30, v28
	v_xor_b32_e32 v25, v25, v37
	v_bitop3_b32 v25, v24, v25, s24 bitop3:0x78
	v_cndmask_b32_e32 v24, 0, v1, vcc
	v_cndmask_b32_e32 v25, v44, v25, vcc
	v_mul_f64 v[26:27], v[20:21], v[24:25]
	v_mul_f64 v[24:25], v[14:15], v[24:25]
	v_fmac_f64_e32 v[24:25], v[20:21], v[22:23]
	v_add_f64 v[20:21], v[8:9], v[12:13]
	v_mul_f64 v[12:13], v[88:89], v[88:89]
	v_fma_f64 v[26:27], v[14:15], v[22:23], -v[26:27]
	v_mul_f64 v[14:15], v[12:13], 0.5
	v_fma_f64 v[30:31], s[2:3], v[12:13], v[100:101]
	v_add_f64 v[22:23], -v[14:15], 1.0
	v_fma_f64 v[30:31], v[12:13], v[30:31], s[4:5]
	v_fma_f64 v[30:31], v[12:13], v[30:31], s[8:9]
	v_add_f64 v[32:33], -v[22:23], 1.0
	v_fma_f64 v[30:31], v[12:13], v[30:31], s[10:11]
	v_add_f64 v[14:15], v[32:33], -v[14:15]
	v_mul_f64 v[28:29], v[12:13], v[12:13]
	v_fma_f64 v[30:31], v[12:13], v[30:31], s[12:13]
	v_fma_f64 v[14:15], v[88:89], -v[90:91], v[14:15]
	v_fmac_f64_e32 v[14:15], v[28:29], v[30:31]
	v_fma_f64 v[28:29], s[14:15], v[12:13], v[102:103]
	v_fma_f64 v[28:29], v[12:13], v[28:29], s[16:17]
	;; [unrolled: 1-line block ×3, first 2 shown]
	v_add_f64 v[14:15], v[22:23], v[14:15]
	v_mul_f64 v[22:23], v[88:89], -v[12:13]
	v_fma_f64 v[28:29], v[12:13], v[28:29], s[20:21]
	v_mul_f64 v[30:31], v[90:91], 0.5
	v_fmac_f64_e32 v[30:31], v[22:23], v[28:29]
	v_fma_f64 v[12:13], v[12:13], v[30:31], -v[90:91]
	v_fmac_f64_e32 v[12:13], s[22:23], v[22:23]
	v_and_b32_e32 v1, 1, v52
	v_add_f64 v[12:13], v[88:89], -v[12:13]
	v_xor_b32_e32 v13, 0x80000000, v13
	v_cmp_eq_u32_e32 vcc, 0, v1
	v_add_f64 v[8:9], v[108:109], -v[106:107]
	s_nop 0
	v_cndmask_b32_e32 v1, v12, v14, vcc
	v_cndmask_b32_e32 v12, v13, v15, vcc
	v_mul_f64 v[14:15], v[94:95], v[94:95]
	v_mul_f64 v[22:23], v[14:15], 0.5
	v_fmac_f64_e32 v[100:101], s[2:3], v[14:15]
	v_add_f64 v[28:29], -v[22:23], 1.0
	v_fma_f64 v[32:33], v[14:15], v[100:101], s[4:5]
	v_add_f64 v[30:31], -v[28:29], 1.0
	v_fma_f64 v[32:33], v[14:15], v[32:33], s[8:9]
	v_add_f64 v[22:23], v[30:31], -v[22:23]
	v_fma_f64 v[32:33], v[14:15], v[32:33], s[10:11]
	v_mul_f64 v[30:31], v[14:15], v[14:15]
	v_fma_f64 v[32:33], v[14:15], v[32:33], s[12:13]
	v_fma_f64 v[22:23], v[94:95], -v[96:97], v[22:23]
	v_fmac_f64_e32 v[22:23], v[30:31], v[32:33]
	v_fmac_f64_e32 v[102:103], s[14:15], v[14:15]
	v_add_f64 v[22:23], v[28:29], v[22:23]
	v_fma_f64 v[28:29], v[14:15], v[102:103], s[16:17]
	v_fma_f64 v[28:29], v[14:15], v[28:29], s[18:19]
	v_fma_f64 v[28:29], v[14:15], v[28:29], s[20:21]
	v_mul_f64 v[30:31], v[94:95], -v[14:15]
	v_mul_f64 v[32:33], v[96:97], 0.5
	v_fmac_f64_e32 v[32:33], v[30:31], v[28:29]
	v_lshlrev_b32_e32 v13, 30, v52
	v_cmp_lg_f64_e32 vcc, s[6:7], v[62:63]
	v_fma_f64 v[14:15], v[14:15], v[32:33], -v[96:97]
	v_bitop3_b32 v13, v12, v13, s24 bitop3:0x78
	v_cndmask_b32_e32 v12, 0, v1, vcc
	v_fmac_f64_e32 v[14:15], s[22:23], v[30:31]
	v_and_b32_e32 v1, 1, v53
	v_add_f64 v[14:15], v[94:95], -v[14:15]
	v_cmp_eq_u32_e64 s[0:1], 0, v1
	v_cndmask_b32_e32 v13, v44, v13, vcc
	s_mov_b32 s5, 0x3fd921fb
	v_cndmask_b32_e64 v1, v22, v14, s[0:1]
	v_cndmask_b32_e64 v14, v23, v15, s[0:1]
	v_lshlrev_b32_e32 v15, 30, v53
	v_xor_b32_e32 v15, v15, v63
	v_bitop3_b32 v15, v14, v15, s24 bitop3:0x78
	v_cndmask_b32_e32 v14, 0, v1, vcc
	v_cndmask_b32_e32 v15, v44, v15, vcc
	v_mul_f64 v[22:23], v[10:11], v[14:15]
	v_add_u32_e32 v1, 0x800, v121
	v_fma_f64 v[22:23], v[8:9], v[12:13], -v[22:23]
	ds_write2_b64 v1, v[26:27], v[80:81] offset0:8 offset1:74
	ds_write2_b64 v1, v[2:3], v[22:23] offset0:140 offset1:206
	v_and_b32_e32 v2, 7, v0
	v_and_b32_e32 v0, 0x3f8, v0
	s_movk_i32 s0, 0x210
	v_mad_u32_u24 v0, v2, s0, v0
	s_waitcnt lgkmcnt(0)
	s_barrier
	scratch_store_dword off, v2, off offset:12 ; 4-byte Folded Spill
	ds_read2_b64 v[2:5], v0 offset1:8
	v_mul_f64 v[28:29], v[8:9], v[14:15]
	v_fmac_f64_e32 v[28:29], v[10:11], v[12:13]
	s_mov_b32 s4, 0x54442d18
	s_mov_b32 s0, 0
	s_waitcnt lgkmcnt(0)
	scratch_store_dwordx4 off, v[2:5], off offset:92 ; 16-byte Folded Spill
	ds_read2_b64 v[2:5], v0 offset0:16 offset1:24
	ds_read2_b64 v[122:125], v0 offset0:32 offset1:40
	;; [unrolled: 1-line block ×3, first 2 shown]
	s_waitcnt lgkmcnt(0)
	s_barrier
	ds_write2_b64 v121, v[20:21], v[68:69] offset1:66
	ds_write2_b64 v121, v[18:19], v[92:93] offset0:132 offset1:198
	ds_write2_b64 v1, v[24:25], v[78:79] offset0:8 offset1:74
	;; [unrolled: 1-line block ×3, first 2 shown]
	s_waitcnt lgkmcnt(0)
	s_barrier
	ds_read2_b64 v[24:27], v0 offset1:8
	ds_read2_b64 v[18:21], v0 offset0:16 offset1:24
	ds_read2_b64 v[28:31], v0 offset0:32 offset1:40
	;; [unrolled: 1-line block ×3, first 2 shown]
	v_mul_f64 v[32:33], v[66:67], s[4:5]
	s_mov_b32 s1, 0x41d00000
                                        ; implicit-def: $vgpr0
	v_cmp_ngt_f64_e32 vcc, s[0:1], v[32:33]
	v_trig_preop_f64 v[48:49], v[32:33], 0
	v_trig_preop_f64 v[46:47], v[32:33], 1
	;; [unrolled: 1-line block ×3, first 2 shown]
                                        ; kill: killed $vgpr0
                                        ; implicit-def: $vgpr0_vgpr1
	s_waitcnt lgkmcnt(0)
	scratch_store_dwordx4 off, v[14:17], off offset:60 ; 16-byte Folded Spill
	s_barrier
	scratch_store_dword off, v36, off offset:8 ; 4-byte Folded Spill
                                        ; kill: killed $vgpr0_vgpr1
                                        ; implicit-def: $vgpr0_vgpr1
                                        ; kill: killed $vgpr0_vgpr1
	s_and_saveexec_b64 s[0:1], vcc
	s_xor_b64 s[8:9], exec, s[0:1]
	s_cbranch_execz .LBB1_58
; %bb.57:
	s_mov_b32 s0, 0
	s_mov_b32 s1, 0x7b000000
	s_movk_i32 s2, 0xff80
	v_ldexp_f64 v[36:37], v[32:33], s2
	v_cmp_le_f64_e64 s[0:1], s[0:1], v[32:33]
	v_mov_b32_e32 v0, 0x40100000
	s_mov_b32 s5, 0x3ff921fb
	v_cndmask_b32_e64 v37, v33, v37, s[0:1]
	v_cndmask_b32_e64 v36, v32, v36, s[0:1]
	v_mul_f64 v[40:41], v[48:49], v[36:37]
	v_mul_f64 v[38:39], v[46:47], v[36:37]
	v_fma_f64 v[42:43], v[48:49], v[36:37], -v[40:41]
	v_add_f64 v[50:51], v[38:39], v[42:43]
	v_add_f64 v[58:59], v[50:51], -v[38:39]
	v_add_f64 v[42:43], v[42:43], -v[58:59]
	;; [unrolled: 1-line block ×4, first 2 shown]
	v_add_f64 v[42:43], v[42:43], v[58:59]
	v_fma_f64 v[38:39], v[46:47], v[36:37], -v[38:39]
	v_mul_f64 v[58:59], v[44:45], v[36:37]
	v_add_f64 v[60:61], v[58:59], v[38:39]
	v_add_f64 v[52:53], v[40:41], v[50:51]
	;; [unrolled: 1-line block ×3, first 2 shown]
	v_ldexp_f64 v[54:55], v[52:53], -2
	v_add_f64 v[40:41], v[52:53], -v[40:41]
	v_add_f64 v[52:53], v[62:63], -v[60:61]
	;; [unrolled: 1-line block ×5, first 2 shown]
	v_add_f64 v[42:43], v[42:43], v[52:53]
	v_add_f64 v[52:53], v[60:61], -v[58:59]
	v_add_f64 v[38:39], v[38:39], -v[52:53]
	;; [unrolled: 1-line block ×5, first 2 shown]
	v_add_f64 v[38:39], v[38:39], v[52:53]
	v_fract_f64_e32 v[56:57], v[54:55]
	v_add_f64 v[50:51], v[40:41], v[62:63]
	v_add_f64 v[38:39], v[38:39], v[42:43]
	v_fma_f64 v[36:37], v[44:45], v[36:37], -v[58:59]
	v_add_f64 v[40:41], v[50:51], -v[40:41]
	v_add_f64 v[36:37], v[36:37], v[38:39]
	v_ldexp_f64 v[38:39], v[56:57], 2
	v_cmp_neq_f64_e64 s[0:1], |v[54:55]|, s[6:7]
	v_add_f64 v[40:41], v[62:63], -v[40:41]
	v_add_f64 v[36:37], v[40:41], v[36:37]
	v_cndmask_b32_e64 v39, 0, v39, s[0:1]
	v_cndmask_b32_e64 v38, 0, v38, s[0:1]
	v_add_f64 v[40:41], v[50:51], v[38:39]
	v_cmp_gt_f64_e64 s[0:1], 0, v[40:41]
	v_mov_b32_e32 v40, 0
	s_nop 0
	v_cndmask_b32_e64 v41, 0, v0, s[0:1]
	v_add_f64 v[38:39], v[38:39], v[40:41]
	v_add_f64 v[42:43], v[50:51], v[38:39]
	v_cvt_i32_f64_e32 v0, v[42:43]
	v_cvt_f64_i32_e32 v[42:43], v0
	v_add_f64 v[38:39], v[38:39], -v[42:43]
	v_add_f64 v[42:43], v[50:51], v[38:39]
	v_cmp_le_f64_e64 s[0:1], 0.5, v[42:43]
	v_add_f64 v[38:39], v[42:43], -v[38:39]
	v_add_f64 v[38:39], v[50:51], -v[38:39]
	v_addc_co_u32_e64 v0, s[2:3], 0, v0, s[0:1]
	scratch_store_dword off, v0, off offset:20 ; 4-byte Folded Spill
	v_mov_b32_e32 v0, 0x3ff00000
	v_cndmask_b32_e64 v41, 0, v0, s[0:1]
	v_add_f64 v[36:37], v[36:37], v[38:39]
	v_add_f64 v[38:39], v[42:43], -v[40:41]
	v_add_f64 v[40:41], v[38:39], v[36:37]
	v_add_f64 v[38:39], v[40:41], -v[38:39]
	v_add_f64 v[36:37], v[36:37], -v[38:39]
	v_mul_f64 v[38:39], v[40:41], s[4:5]
	s_mov_b32 s0, 0x33145c07
	v_fma_f64 v[42:43], v[40:41], s[4:5], -v[38:39]
	s_mov_b32 s1, 0x3c91a626
	v_fmac_f64_e32 v[42:43], s[0:1], v[40:41]
	v_fmac_f64_e32 v[42:43], s[4:5], v[36:37]
	v_add_f64 v[0:1], v[38:39], v[42:43]
	v_add_f64 v[38:39], v[0:1], -v[38:39]
	scratch_store_dwordx2 off, v[0:1], off offset:44 ; 8-byte Folded Spill
	v_add_f64 v[0:1], v[42:43], -v[38:39]
	scratch_store_dwordx2 off, v[0:1], off offset:28 ; 8-byte Folded Spill
	s_andn2_saveexec_b64 s[0:1], s[8:9]
	s_cbranch_execz .LBB1_60
	s_branch .LBB1_59
.LBB1_58:
	s_andn2_saveexec_b64 s[0:1], s[8:9]
	s_cbranch_execz .LBB1_60
.LBB1_59:
	s_mov_b32 s2, 0x6dc9c883
	s_mov_b32 s3, 0x3fe45f30
	v_mul_f64 v[36:37], v[32:33], s[2:3]
	s_mov_b32 s2, 0x54442d18
	v_rndne_f64_e32 v[38:39], v[36:37]
	s_mov_b32 s3, 0xbff921fb
	v_fma_f64 v[36:37], s[2:3], v[38:39], v[32:33]
	s_mov_b32 s3, 0xbc91a626
	s_mov_b32 s2, 0x33145c00
	v_mul_f64 v[42:43], v[38:39], s[2:3]
	v_add_f64 v[52:53], v[36:37], v[42:43]
	v_fma_f64 v[40:41], s[2:3], v[38:39], v[36:37]
	s_mov_b32 s3, 0x3c91a626
	v_add_f64 v[36:37], v[36:37], -v[52:53]
	v_fma_f64 v[50:51], s[2:3], v[38:39], v[42:43]
	v_add_f64 v[36:37], v[36:37], v[42:43]
	v_add_f64 v[42:43], v[52:53], -v[40:41]
	v_add_f64 v[36:37], v[42:43], v[36:37]
	s_mov_b32 s2, 0x252049c0
	v_add_f64 v[42:43], v[36:37], -v[50:51]
	s_mov_b32 s3, 0xb97b839a
	v_fmac_f64_e32 v[42:43], s[2:3], v[38:39]
	v_add_f64 v[0:1], v[40:41], v[42:43]
	v_add_f64 v[40:41], v[0:1], -v[40:41]
	scratch_store_dwordx2 off, v[0:1], off offset:44 ; 8-byte Folded Spill
	v_add_f64 v[0:1], v[42:43], -v[40:41]
	scratch_store_dwordx2 off, v[0:1], off offset:28 ; 8-byte Folded Spill
	v_cvt_i32_f64_e32 v0, v[38:39]
	scratch_store_dword off, v0, off offset:20 ; 4-byte Folded Spill
.LBB1_60:
	s_or_b64 exec, exec, s[0:1]
                                        ; implicit-def: $vgpr0
                                        ; kill: killed $vgpr0
                                        ; implicit-def: $vgpr0_vgpr1
                                        ; kill: killed $vgpr0_vgpr1
                                        ; implicit-def: $vgpr0_vgpr1
                                        ; kill: killed $vgpr0_vgpr1
	s_and_saveexec_b64 s[0:1], vcc
	s_xor_b64 s[2:3], exec, s[0:1]
	s_cbranch_execz .LBB1_62
; %bb.61:
	s_mov_b32 s0, 0
	s_mov_b32 s1, 0x7b000000
	s_movk_i32 s4, 0xff80
	v_ldexp_f64 v[38:39], v[32:33], s4
	v_cmp_le_f64_e32 vcc, s[0:1], v[32:33]
	s_mov_b32 s0, 0
	s_mov_b32 s1, 0x7ff00000
	v_cndmask_b32_e32 v39, v33, v39, vcc
	v_cndmask_b32_e32 v38, v32, v38, vcc
	v_mul_f64 v[42:43], v[48:49], v[38:39]
	v_mul_f64 v[40:41], v[46:47], v[38:39]
	v_fma_f64 v[48:49], v[48:49], v[38:39], -v[42:43]
	v_add_f64 v[50:51], v[40:41], v[48:49]
	v_add_f64 v[58:59], v[50:51], -v[40:41]
	v_add_f64 v[48:49], v[48:49], -v[58:59]
	;; [unrolled: 1-line block ×4, first 2 shown]
	v_fma_f64 v[40:41], v[46:47], v[38:39], -v[40:41]
	v_mul_f64 v[46:47], v[44:45], v[38:39]
	v_add_f64 v[48:49], v[48:49], v[58:59]
	v_add_f64 v[58:59], v[46:47], v[40:41]
	v_add_f64 v[52:53], v[42:43], v[50:51]
	v_add_f64 v[60:61], v[58:59], v[48:49]
	v_ldexp_f64 v[54:55], v[52:53], -2
	v_add_f64 v[42:43], v[52:53], -v[42:43]
	v_add_f64 v[52:53], v[60:61], -v[58:59]
	;; [unrolled: 1-line block ×5, first 2 shown]
	v_add_f64 v[48:49], v[48:49], v[52:53]
	v_add_f64 v[52:53], v[58:59], -v[46:47]
	v_add_f64 v[40:41], v[40:41], -v[52:53]
	;; [unrolled: 1-line block ×5, first 2 shown]
	v_add_f64 v[40:41], v[40:41], v[52:53]
	v_fract_f64_e32 v[56:57], v[54:55]
	v_add_f64 v[50:51], v[42:43], v[60:61]
	v_add_f64 v[40:41], v[40:41], v[48:49]
	v_fma_f64 v[38:39], v[44:45], v[38:39], -v[46:47]
	v_add_f64 v[42:43], v[50:51], -v[42:43]
	v_add_f64 v[38:39], v[38:39], v[40:41]
	v_ldexp_f64 v[40:41], v[56:57], 2
	v_cmp_neq_f64_e64 vcc, |v[54:55]|, s[0:1]
	v_add_f64 v[42:43], v[60:61], -v[42:43]
	v_add_f64 v[38:39], v[42:43], v[38:39]
	v_cndmask_b32_e32 v41, 0, v41, vcc
	v_cndmask_b32_e32 v40, 0, v40, vcc
	v_add_f64 v[42:43], v[50:51], v[40:41]
	v_mov_b32_e32 v0, 0x40100000
	v_cmp_gt_f64_e32 vcc, 0, v[42:43]
	v_mov_b32_e32 v42, 0
	s_mov_b32 s4, 0x33145c07
	v_cndmask_b32_e32 v43, 0, v0, vcc
	v_add_f64 v[40:41], v[40:41], v[42:43]
	v_add_f64 v[44:45], v[50:51], v[40:41]
	v_cvt_i32_f64_e32 v0, v[44:45]
	v_cvt_f64_i32_e32 v[44:45], v0
	v_add_f64 v[40:41], v[40:41], -v[44:45]
	v_add_f64 v[44:45], v[50:51], v[40:41]
	v_cmp_le_f64_e32 vcc, 0.5, v[44:45]
	v_add_f64 v[40:41], v[44:45], -v[40:41]
	v_add_f64 v[40:41], v[50:51], -v[40:41]
	v_addc_co_u32_e64 v0, s[0:1], 0, v0, vcc
	scratch_store_dword off, v0, off offset:52 ; 4-byte Folded Spill
	v_mov_b32_e32 v0, 0x3ff00000
	v_cndmask_b32_e32 v43, 0, v0, vcc
	v_add_f64 v[38:39], v[38:39], v[40:41]
	v_add_f64 v[40:41], v[44:45], -v[42:43]
	s_mov_b32 s0, 0x54442d18
	v_add_f64 v[42:43], v[40:41], v[38:39]
	s_mov_b32 s1, 0x3ff921fb
	v_mul_f64 v[44:45], v[42:43], s[0:1]
	v_add_f64 v[40:41], v[42:43], -v[40:41]
	v_fma_f64 v[46:47], v[42:43], s[0:1], -v[44:45]
	s_mov_b32 s5, 0x3c91a626
	v_add_f64 v[38:39], v[38:39], -v[40:41]
	v_fmac_f64_e32 v[46:47], s[4:5], v[42:43]
	v_fmac_f64_e32 v[46:47], s[0:1], v[38:39]
	v_add_f64 v[0:1], v[44:45], v[46:47]
	v_add_f64 v[38:39], v[0:1], -v[44:45]
	scratch_store_dwordx2 off, v[0:1], off offset:76 ; 8-byte Folded Spill
	v_add_f64 v[0:1], v[46:47], -v[38:39]
	scratch_store_dwordx2 off, v[0:1], off offset:84 ; 8-byte Folded Spill
	s_andn2_saveexec_b64 s[0:1], s[2:3]
	s_cbranch_execnz .LBB1_63
	s_branch .LBB1_64
.LBB1_62:
	s_andn2_saveexec_b64 s[0:1], s[2:3]
	s_cbranch_execz .LBB1_64
.LBB1_63:
	s_mov_b32 s2, 0x6dc9c883
	s_mov_b32 s3, 0x3fe45f30
	v_mul_f64 v[38:39], v[32:33], s[2:3]
	s_mov_b32 s2, 0x54442d18
	v_rndne_f64_e32 v[38:39], v[38:39]
	s_mov_b32 s3, 0xbff921fb
	v_fma_f64 v[40:41], s[2:3], v[38:39], v[32:33]
	s_mov_b32 s3, 0xbc91a626
	s_mov_b32 s2, 0x33145c00
	v_mul_f64 v[44:45], v[38:39], s[2:3]
	v_add_f64 v[48:49], v[40:41], v[44:45]
	v_fma_f64 v[42:43], s[2:3], v[38:39], v[40:41]
	s_mov_b32 s3, 0x3c91a626
	v_add_f64 v[40:41], v[40:41], -v[48:49]
	v_fma_f64 v[46:47], s[2:3], v[38:39], v[44:45]
	v_add_f64 v[40:41], v[40:41], v[44:45]
	v_add_f64 v[44:45], v[48:49], -v[42:43]
	v_add_f64 v[40:41], v[44:45], v[40:41]
	s_mov_b32 s2, 0x252049c0
	v_add_f64 v[44:45], v[40:41], -v[46:47]
	s_mov_b32 s3, 0xb97b839a
	v_fmac_f64_e32 v[44:45], s[2:3], v[38:39]
	v_add_f64 v[0:1], v[42:43], v[44:45]
	v_add_f64 v[42:43], v[0:1], -v[42:43]
	scratch_store_dwordx2 off, v[0:1], off offset:76 ; 8-byte Folded Spill
	v_add_f64 v[0:1], v[44:45], -v[42:43]
	scratch_store_dwordx2 off, v[0:1], off offset:84 ; 8-byte Folded Spill
	v_cvt_i32_f64_e32 v0, v[38:39]
	scratch_store_dword off, v0, off offset:52 ; 4-byte Folded Spill
.LBB1_64:
	s_or_b64 exec, exec, s[0:1]
	s_mov_b32 s5, 0x3fc921fb
	s_mov_b32 s4, 0x54442d18
	;; [unrolled: 1-line block ×3, first 2 shown]
	v_mul_f64 v[44:45], v[66:67], s[4:5]
	s_mov_b32 s1, 0x41d00000
                                        ; implicit-def: $vgpr0
	v_cmp_ngt_f64_e32 vcc, s[0:1], v[44:45]
	v_trig_preop_f64 v[58:59], v[44:45], 0
	v_trig_preop_f64 v[56:57], v[44:45], 1
	;; [unrolled: 1-line block ×3, first 2 shown]
                                        ; kill: killed $vgpr0
                                        ; implicit-def: $vgpr0_vgpr1
                                        ; kill: killed $vgpr0_vgpr1
                                        ; implicit-def: $vgpr0_vgpr1
                                        ; kill: killed $vgpr0_vgpr1
	s_and_saveexec_b64 s[0:1], vcc
	s_xor_b64 s[6:7], exec, s[0:1]
	s_cbranch_execz .LBB1_66
; %bb.65:
	s_mov_b32 s0, 0
	s_mov_b32 s1, 0x7b000000
	s_movk_i32 s2, 0xff80
	v_ldexp_f64 v[38:39], v[44:45], s2
	v_cmp_le_f64_e64 s[0:1], s[0:1], v[44:45]
	v_mov_b32_e32 v0, 0x40100000
	s_mov_b32 s5, 0x3ff921fb
	v_cndmask_b32_e64 v39, v45, v39, s[0:1]
	v_cndmask_b32_e64 v38, v44, v38, s[0:1]
	v_mul_f64 v[48:49], v[58:59], v[38:39]
	v_mul_f64 v[46:47], v[56:57], v[38:39]
	v_fma_f64 v[50:51], v[58:59], v[38:39], -v[48:49]
	v_add_f64 v[52:53], v[46:47], v[50:51]
	v_add_f64 v[68:69], v[52:53], -v[46:47]
	v_add_f64 v[50:51], v[50:51], -v[68:69]
	;; [unrolled: 1-line block ×4, first 2 shown]
	v_add_f64 v[50:51], v[50:51], v[68:69]
	v_fma_f64 v[46:47], v[56:57], v[38:39], -v[46:47]
	v_mul_f64 v[68:69], v[54:55], v[38:39]
	v_add_f64 v[70:71], v[68:69], v[46:47]
	v_add_f64 v[60:61], v[48:49], v[52:53]
	;; [unrolled: 1-line block ×3, first 2 shown]
	v_ldexp_f64 v[62:63], v[60:61], -2
	v_add_f64 v[48:49], v[60:61], -v[48:49]
	v_add_f64 v[60:61], v[72:73], -v[70:71]
	;; [unrolled: 1-line block ×5, first 2 shown]
	v_add_f64 v[50:51], v[50:51], v[60:61]
	v_add_f64 v[60:61], v[70:71], -v[68:69]
	v_add_f64 v[46:47], v[46:47], -v[60:61]
	;; [unrolled: 1-line block ×5, first 2 shown]
	v_add_f64 v[46:47], v[46:47], v[60:61]
	s_mov_b32 s0, 0
	v_fract_f64_e32 v[64:65], v[62:63]
	v_add_f64 v[52:53], v[48:49], v[72:73]
	v_add_f64 v[46:47], v[46:47], v[50:51]
	v_fma_f64 v[38:39], v[54:55], v[38:39], -v[68:69]
	s_mov_b32 s1, 0x7ff00000
	v_add_f64 v[48:49], v[52:53], -v[48:49]
	v_add_f64 v[38:39], v[38:39], v[46:47]
	v_ldexp_f64 v[46:47], v[64:65], 2
	v_cmp_neq_f64_e64 s[0:1], |v[62:63]|, s[0:1]
	v_add_f64 v[48:49], v[72:73], -v[48:49]
	v_add_f64 v[38:39], v[48:49], v[38:39]
	v_cndmask_b32_e64 v47, 0, v47, s[0:1]
	v_cndmask_b32_e64 v46, 0, v46, s[0:1]
	v_add_f64 v[48:49], v[52:53], v[46:47]
	v_cmp_gt_f64_e64 s[0:1], 0, v[48:49]
	v_mov_b32_e32 v48, 0
	s_nop 0
	v_cndmask_b32_e64 v49, 0, v0, s[0:1]
	v_add_f64 v[46:47], v[46:47], v[48:49]
	v_add_f64 v[50:51], v[52:53], v[46:47]
	v_cvt_i32_f64_e32 v0, v[50:51]
	v_cvt_f64_i32_e32 v[50:51], v0
	v_add_f64 v[46:47], v[46:47], -v[50:51]
	v_add_f64 v[50:51], v[52:53], v[46:47]
	v_cmp_le_f64_e64 s[0:1], 0.5, v[50:51]
	v_add_f64 v[46:47], v[50:51], -v[46:47]
	v_add_f64 v[46:47], v[52:53], -v[46:47]
	v_addc_co_u32_e64 v0, s[2:3], 0, v0, s[0:1]
	scratch_store_dword off, v0, off offset:108 ; 4-byte Folded Spill
	v_mov_b32_e32 v0, 0x3ff00000
	v_cndmask_b32_e64 v49, 0, v0, s[0:1]
	v_add_f64 v[38:39], v[38:39], v[46:47]
	v_add_f64 v[46:47], v[50:51], -v[48:49]
	v_add_f64 v[48:49], v[46:47], v[38:39]
	v_mul_f64 v[50:51], v[48:49], s[4:5]
	s_mov_b32 s0, 0x33145c07
	v_add_f64 v[46:47], v[48:49], -v[46:47]
	v_fma_f64 v[52:53], v[48:49], s[4:5], -v[50:51]
	s_mov_b32 s1, 0x3c91a626
	v_add_f64 v[38:39], v[38:39], -v[46:47]
	v_fmac_f64_e32 v[52:53], s[0:1], v[48:49]
	v_fmac_f64_e32 v[52:53], s[4:5], v[38:39]
	v_add_f64 v[0:1], v[50:51], v[52:53]
	v_add_f64 v[38:39], v[0:1], -v[50:51]
	scratch_store_dwordx2 off, v[0:1], off offset:112 ; 8-byte Folded Spill
	v_add_f64 v[0:1], v[52:53], -v[38:39]
	scratch_store_dwordx2 off, v[0:1], off offset:120 ; 8-byte Folded Spill
	s_andn2_saveexec_b64 s[0:1], s[6:7]
	s_cbranch_execz .LBB1_68
	s_branch .LBB1_67
.LBB1_66:
	s_andn2_saveexec_b64 s[0:1], s[6:7]
	s_cbranch_execz .LBB1_68
.LBB1_67:
	s_mov_b32 s2, 0x6dc9c883
	s_mov_b32 s3, 0x3fe45f30
	v_mul_f64 v[38:39], v[44:45], s[2:3]
	s_mov_b32 s2, 0x54442d18
	v_rndne_f64_e32 v[38:39], v[38:39]
	s_mov_b32 s3, 0xbff921fb
	v_fma_f64 v[46:47], s[2:3], v[38:39], v[44:45]
	s_mov_b32 s3, 0xbc91a626
	s_mov_b32 s2, 0x33145c00
	v_mul_f64 v[50:51], v[38:39], s[2:3]
	v_add_f64 v[60:61], v[46:47], v[50:51]
	v_fma_f64 v[48:49], s[2:3], v[38:39], v[46:47]
	s_mov_b32 s3, 0x3c91a626
	v_add_f64 v[46:47], v[46:47], -v[60:61]
	v_fma_f64 v[52:53], s[2:3], v[38:39], v[50:51]
	v_add_f64 v[46:47], v[46:47], v[50:51]
	v_add_f64 v[50:51], v[60:61], -v[48:49]
	v_add_f64 v[46:47], v[50:51], v[46:47]
	s_mov_b32 s2, 0x252049c0
	v_add_f64 v[50:51], v[46:47], -v[52:53]
	s_mov_b32 s3, 0xb97b839a
	v_fmac_f64_e32 v[50:51], s[2:3], v[38:39]
	v_add_f64 v[0:1], v[48:49], v[50:51]
	v_add_f64 v[48:49], v[0:1], -v[48:49]
	scratch_store_dwordx2 off, v[0:1], off offset:112 ; 8-byte Folded Spill
	v_add_f64 v[0:1], v[50:51], -v[48:49]
	scratch_store_dwordx2 off, v[0:1], off offset:120 ; 8-byte Folded Spill
	v_cvt_i32_f64_e32 v0, v[38:39]
	scratch_store_dword off, v0, off offset:108 ; 4-byte Folded Spill
.LBB1_68:
	s_or_b64 exec, exec, s[0:1]
                                        ; implicit-def: $vgpr0
                                        ; kill: killed $vgpr0
                                        ; implicit-def: $vgpr50_vgpr51
                                        ; implicit-def: $vgpr0_vgpr1
                                        ; kill: killed $vgpr0_vgpr1
	s_and_saveexec_b64 s[0:1], vcc
	s_xor_b64 s[2:3], exec, s[0:1]
	s_cbranch_execz .LBB1_70
; %bb.69:
	s_mov_b32 s0, 0
	s_mov_b32 s1, 0x7b000000
	s_movk_i32 s4, 0xff80
	v_ldexp_f64 v[38:39], v[44:45], s4
	v_cmp_le_f64_e32 vcc, s[0:1], v[44:45]
	s_mov_b32 s0, 0
	s_mov_b32 s1, 0x7ff00000
	v_cndmask_b32_e32 v39, v45, v39, vcc
	v_cndmask_b32_e32 v38, v44, v38, vcc
	v_mul_f64 v[52:53], v[58:59], v[38:39]
	v_mul_f64 v[50:51], v[56:57], v[38:39]
	v_fma_f64 v[58:59], v[58:59], v[38:39], -v[52:53]
	v_add_f64 v[60:61], v[50:51], v[58:59]
	v_add_f64 v[70:71], v[60:61], -v[50:51]
	v_add_f64 v[58:59], v[58:59], -v[70:71]
	;; [unrolled: 1-line block ×4, first 2 shown]
	v_fma_f64 v[50:51], v[56:57], v[38:39], -v[50:51]
	v_mul_f64 v[56:57], v[54:55], v[38:39]
	v_add_f64 v[58:59], v[58:59], v[70:71]
	v_add_f64 v[70:71], v[56:57], v[50:51]
	;; [unrolled: 1-line block ×4, first 2 shown]
	v_ldexp_f64 v[64:65], v[62:63], -2
	v_add_f64 v[52:53], v[62:63], -v[52:53]
	v_add_f64 v[62:63], v[72:73], -v[70:71]
	;; [unrolled: 1-line block ×5, first 2 shown]
	v_add_f64 v[58:59], v[58:59], v[62:63]
	v_add_f64 v[62:63], v[70:71], -v[56:57]
	v_add_f64 v[50:51], v[50:51], -v[62:63]
	;; [unrolled: 1-line block ×5, first 2 shown]
	v_add_f64 v[50:51], v[50:51], v[62:63]
	v_fract_f64_e32 v[68:69], v[64:65]
	v_add_f64 v[60:61], v[52:53], v[72:73]
	v_add_f64 v[50:51], v[50:51], v[58:59]
	v_fma_f64 v[38:39], v[54:55], v[38:39], -v[56:57]
	v_add_f64 v[52:53], v[60:61], -v[52:53]
	v_add_f64 v[38:39], v[38:39], v[50:51]
	v_ldexp_f64 v[50:51], v[68:69], 2
	v_cmp_neq_f64_e64 vcc, |v[64:65]|, s[0:1]
	v_add_f64 v[52:53], v[72:73], -v[52:53]
	v_add_f64 v[38:39], v[52:53], v[38:39]
	v_cndmask_b32_e32 v51, 0, v51, vcc
	v_cndmask_b32_e32 v50, 0, v50, vcc
	v_add_f64 v[52:53], v[60:61], v[50:51]
	v_mov_b32_e32 v0, 0x40100000
	v_cmp_gt_f64_e32 vcc, 0, v[52:53]
	v_mov_b32_e32 v52, 0
	s_mov_b32 s4, 0x33145c07
	v_cndmask_b32_e32 v53, 0, v0, vcc
	v_add_f64 v[50:51], v[50:51], v[52:53]
	v_add_f64 v[54:55], v[60:61], v[50:51]
	v_cvt_i32_f64_e32 v0, v[54:55]
	v_cvt_f64_i32_e32 v[54:55], v0
	v_add_f64 v[50:51], v[50:51], -v[54:55]
	v_add_f64 v[54:55], v[60:61], v[50:51]
	v_cmp_le_f64_e32 vcc, 0.5, v[54:55]
	v_add_f64 v[50:51], v[54:55], -v[50:51]
	v_add_f64 v[50:51], v[60:61], -v[50:51]
	v_addc_co_u32_e64 v0, s[0:1], 0, v0, vcc
	scratch_store_dword off, v0, off offset:128 ; 4-byte Folded Spill
	v_mov_b32_e32 v0, 0x3ff00000
	v_cndmask_b32_e32 v53, 0, v0, vcc
	v_add_f64 v[38:39], v[38:39], v[50:51]
	v_add_f64 v[50:51], v[54:55], -v[52:53]
	s_mov_b32 s0, 0x54442d18
	v_add_f64 v[52:53], v[50:51], v[38:39]
	s_mov_b32 s1, 0x3ff921fb
	v_mul_f64 v[54:55], v[52:53], s[0:1]
	v_add_f64 v[50:51], v[52:53], -v[50:51]
	v_fma_f64 v[56:57], v[52:53], s[0:1], -v[54:55]
	s_mov_b32 s5, 0x3c91a626
	v_add_f64 v[38:39], v[38:39], -v[50:51]
	v_fmac_f64_e32 v[56:57], s[4:5], v[52:53]
	v_fmac_f64_e32 v[56:57], s[0:1], v[38:39]
	v_add_f64 v[50:51], v[54:55], v[56:57]
	v_add_f64 v[38:39], v[50:51], -v[54:55]
	v_add_f64 v[0:1], v[56:57], -v[38:39]
	scratch_store_dwordx2 off, v[0:1], off offset:132 ; 8-byte Folded Spill
	s_andn2_saveexec_b64 s[0:1], s[2:3]
	s_cbranch_execnz .LBB1_71
	s_branch .LBB1_72
.LBB1_70:
	s_andn2_saveexec_b64 s[0:1], s[2:3]
	s_cbranch_execz .LBB1_72
.LBB1_71:
	s_mov_b32 s2, 0x6dc9c883
	s_mov_b32 s3, 0x3fe45f30
	v_mul_f64 v[38:39], v[44:45], s[2:3]
	s_mov_b32 s2, 0x54442d18
	v_rndne_f64_e32 v[38:39], v[38:39]
	s_mov_b32 s3, 0xbff921fb
	v_fma_f64 v[50:51], s[2:3], v[38:39], v[44:45]
	s_mov_b32 s3, 0xbc91a626
	s_mov_b32 s2, 0x33145c00
	v_mul_f64 v[54:55], v[38:39], s[2:3]
	v_add_f64 v[58:59], v[50:51], v[54:55]
	v_fma_f64 v[52:53], s[2:3], v[38:39], v[50:51]
	s_mov_b32 s3, 0x3c91a626
	v_add_f64 v[50:51], v[50:51], -v[58:59]
	v_fma_f64 v[56:57], s[2:3], v[38:39], v[54:55]
	v_add_f64 v[50:51], v[50:51], v[54:55]
	v_add_f64 v[54:55], v[58:59], -v[52:53]
	v_add_f64 v[50:51], v[54:55], v[50:51]
	s_mov_b32 s2, 0x252049c0
	v_add_f64 v[54:55], v[50:51], -v[56:57]
	s_mov_b32 s3, 0xb97b839a
	v_fmac_f64_e32 v[54:55], s[2:3], v[38:39]
	v_add_f64 v[50:51], v[52:53], v[54:55]
	v_add_f64 v[52:53], v[50:51], -v[52:53]
	v_add_f64 v[0:1], v[54:55], -v[52:53]
	scratch_store_dwordx2 off, v[0:1], off offset:132 ; 8-byte Folded Spill
	v_cvt_i32_f64_e32 v0, v[38:39]
	scratch_store_dword off, v0, off offset:128 ; 4-byte Folded Spill
.LBB1_72:
	s_or_b64 exec, exec, s[0:1]
	s_mov_b32 s0, 0x7f3321d2
	s_mov_b32 s1, 0x3fe2d97c
	v_mul_f64 v[54:55], v[66:67], s[0:1]
	s_mov_b32 s0, 0
	s_mov_b32 s1, 0x41d00000
	v_cmp_ngt_f64_e32 vcc, s[0:1], v[54:55]
	v_trig_preop_f64 v[70:71], v[54:55], 0
	v_trig_preop_f64 v[68:69], v[54:55], 1
	;; [unrolled: 1-line block ×3, first 2 shown]
                                        ; implicit-def: $vgpr0
                                        ; kill: killed $vgpr0
                                        ; implicit-def: $vgpr40_vgpr41
                                        ; implicit-def: $vgpr0_vgpr1
                                        ; kill: killed $vgpr0_vgpr1
	s_and_saveexec_b64 s[0:1], vcc
	s_xor_b64 s[4:5], exec, s[0:1]
	s_cbranch_execz .LBB1_74
; %bb.73:
	s_mov_b32 s0, 0
	s_mov_b32 s1, 0x7b000000
	s_movk_i32 s2, 0xff80
	v_ldexp_f64 v[38:39], v[54:55], s2
	v_cmp_le_f64_e64 s[0:1], s[0:1], v[54:55]
	v_mov_b32_e32 v0, 0x40100000
	s_nop 0
	v_cndmask_b32_e64 v39, v55, v39, s[0:1]
	v_cndmask_b32_e64 v38, v54, v38, s[0:1]
	v_mul_f64 v[58:59], v[70:71], v[38:39]
	v_mul_f64 v[56:57], v[68:69], v[38:39]
	v_fma_f64 v[60:61], v[70:71], v[38:39], -v[58:59]
	v_add_f64 v[62:63], v[56:57], v[60:61]
	v_add_f64 v[78:79], v[62:63], -v[56:57]
	v_add_f64 v[60:61], v[60:61], -v[78:79]
	;; [unrolled: 1-line block ×4, first 2 shown]
	v_add_f64 v[60:61], v[60:61], v[78:79]
	v_fma_f64 v[56:57], v[68:69], v[38:39], -v[56:57]
	v_mul_f64 v[78:79], v[64:65], v[38:39]
	v_add_f64 v[80:81], v[78:79], v[56:57]
	v_add_f64 v[72:73], v[58:59], v[62:63]
	;; [unrolled: 1-line block ×3, first 2 shown]
	v_ldexp_f64 v[74:75], v[72:73], -2
	v_add_f64 v[58:59], v[72:73], -v[58:59]
	v_add_f64 v[72:73], v[82:83], -v[80:81]
	;; [unrolled: 1-line block ×5, first 2 shown]
	v_add_f64 v[60:61], v[60:61], v[72:73]
	v_add_f64 v[72:73], v[80:81], -v[78:79]
	v_add_f64 v[56:57], v[56:57], -v[72:73]
	;; [unrolled: 1-line block ×5, first 2 shown]
	v_add_f64 v[56:57], v[56:57], v[72:73]
	s_mov_b32 s0, 0
	v_fract_f64_e32 v[76:77], v[74:75]
	v_add_f64 v[62:63], v[58:59], v[82:83]
	v_add_f64 v[56:57], v[56:57], v[60:61]
	v_fma_f64 v[38:39], v[64:65], v[38:39], -v[78:79]
	s_mov_b32 s1, 0x7ff00000
	v_add_f64 v[58:59], v[62:63], -v[58:59]
	v_add_f64 v[38:39], v[38:39], v[56:57]
	v_ldexp_f64 v[56:57], v[76:77], 2
	v_cmp_neq_f64_e64 s[0:1], |v[74:75]|, s[0:1]
	v_add_f64 v[58:59], v[82:83], -v[58:59]
	v_add_f64 v[38:39], v[58:59], v[38:39]
	v_cndmask_b32_e64 v57, 0, v57, s[0:1]
	v_cndmask_b32_e64 v56, 0, v56, s[0:1]
	v_add_f64 v[58:59], v[62:63], v[56:57]
	v_cmp_gt_f64_e64 s[0:1], 0, v[58:59]
	v_mov_b32_e32 v58, 0
	s_nop 0
	v_cndmask_b32_e64 v59, 0, v0, s[0:1]
	v_add_f64 v[56:57], v[56:57], v[58:59]
	v_add_f64 v[60:61], v[62:63], v[56:57]
	v_cvt_i32_f64_e32 v0, v[60:61]
	v_cvt_f64_i32_e32 v[60:61], v0
	v_add_f64 v[56:57], v[56:57], -v[60:61]
	v_add_f64 v[60:61], v[62:63], v[56:57]
	v_cmp_le_f64_e64 s[0:1], 0.5, v[60:61]
	v_add_f64 v[56:57], v[60:61], -v[56:57]
	v_add_f64 v[56:57], v[62:63], -v[56:57]
	v_addc_co_u32_e64 v0, s[2:3], 0, v0, s[0:1]
	scratch_store_dword off, v0, off offset:140 ; 4-byte Folded Spill
	v_mov_b32_e32 v0, 0x3ff00000
	v_cndmask_b32_e64 v59, 0, v0, s[0:1]
	v_add_f64 v[38:39], v[38:39], v[56:57]
	v_add_f64 v[56:57], v[60:61], -v[58:59]
	s_mov_b32 s0, 0x54442d18
	v_add_f64 v[58:59], v[56:57], v[38:39]
	s_mov_b32 s1, 0x3ff921fb
	v_mul_f64 v[60:61], v[58:59], s[0:1]
	s_mov_b32 s2, 0x33145c07
	v_add_f64 v[56:57], v[58:59], -v[56:57]
	v_fma_f64 v[62:63], v[58:59], s[0:1], -v[60:61]
	s_mov_b32 s3, 0x3c91a626
	v_add_f64 v[38:39], v[38:39], -v[56:57]
	v_fmac_f64_e32 v[62:63], s[2:3], v[58:59]
	v_fmac_f64_e32 v[62:63], s[0:1], v[38:39]
	v_add_f64 v[40:41], v[60:61], v[62:63]
	v_add_f64 v[38:39], v[40:41], -v[60:61]
	v_add_f64 v[0:1], v[62:63], -v[38:39]
	scratch_store_dwordx2 off, v[0:1], off offset:148 ; 8-byte Folded Spill
	s_andn2_saveexec_b64 s[0:1], s[4:5]
	s_cbranch_execz .LBB1_76
	s_branch .LBB1_75
.LBB1_74:
	s_andn2_saveexec_b64 s[0:1], s[4:5]
	s_cbranch_execz .LBB1_76
.LBB1_75:
	s_mov_b32 s2, 0x6dc9c883
	s_mov_b32 s3, 0x3fe45f30
	v_mul_f64 v[38:39], v[54:55], s[2:3]
	s_mov_b32 s2, 0x54442d18
	v_rndne_f64_e32 v[38:39], v[38:39]
	s_mov_b32 s3, 0xbff921fb
	v_fma_f64 v[56:57], s[2:3], v[38:39], v[54:55]
	s_mov_b32 s3, 0xbc91a626
	s_mov_b32 s2, 0x33145c00
	v_mul_f64 v[60:61], v[38:39], s[2:3]
	v_add_f64 v[72:73], v[56:57], v[60:61]
	v_fma_f64 v[58:59], s[2:3], v[38:39], v[56:57]
	s_mov_b32 s3, 0x3c91a626
	v_add_f64 v[56:57], v[56:57], -v[72:73]
	v_fma_f64 v[62:63], s[2:3], v[38:39], v[60:61]
	v_add_f64 v[56:57], v[56:57], v[60:61]
	v_add_f64 v[60:61], v[72:73], -v[58:59]
	v_add_f64 v[56:57], v[60:61], v[56:57]
	s_mov_b32 s2, 0x252049c0
	v_add_f64 v[60:61], v[56:57], -v[62:63]
	s_mov_b32 s3, 0xb97b839a
	v_fmac_f64_e32 v[60:61], s[2:3], v[38:39]
	v_add_f64 v[40:41], v[58:59], v[60:61]
	v_add_f64 v[58:59], v[40:41], -v[58:59]
	v_add_f64 v[0:1], v[60:61], -v[58:59]
	scratch_store_dwordx2 off, v[0:1], off offset:148 ; 8-byte Folded Spill
	v_cvt_i32_f64_e32 v0, v[38:39]
	scratch_store_dword off, v0, off offset:140 ; 4-byte Folded Spill
.LBB1_76:
	s_or_b64 exec, exec, s[0:1]
                                        ; implicit-def: $vgpr0
                                        ; kill: killed $vgpr0
                                        ; implicit-def: $vgpr46_vgpr47
                                        ; implicit-def: $vgpr0_vgpr1
                                        ; kill: killed $vgpr0_vgpr1
	s_and_saveexec_b64 s[0:1], vcc
	s_xor_b64 s[2:3], exec, s[0:1]
	s_cbranch_execz .LBB1_78
; %bb.77:
	s_mov_b32 s0, 0
	s_mov_b32 s1, 0x7b000000
	s_movk_i32 s4, 0xff80
	v_ldexp_f64 v[38:39], v[54:55], s4
	v_cmp_le_f64_e32 vcc, s[0:1], v[54:55]
	s_mov_b32 s0, 0
	s_mov_b32 s1, 0x7ff00000
	v_cndmask_b32_e32 v39, v55, v39, vcc
	v_cndmask_b32_e32 v38, v54, v38, vcc
	v_mul_f64 v[62:63], v[70:71], v[38:39]
	v_mul_f64 v[60:61], v[68:69], v[38:39]
	v_fma_f64 v[70:71], v[70:71], v[38:39], -v[62:63]
	v_add_f64 v[72:73], v[60:61], v[70:71]
	v_add_f64 v[80:81], v[72:73], -v[60:61]
	v_add_f64 v[70:71], v[70:71], -v[80:81]
	v_add_f64 v[80:81], v[72:73], -v[80:81]
	v_add_f64 v[80:81], v[60:61], -v[80:81]
	v_fma_f64 v[60:61], v[68:69], v[38:39], -v[60:61]
	v_mul_f64 v[68:69], v[64:65], v[38:39]
	v_add_f64 v[70:71], v[70:71], v[80:81]
	v_add_f64 v[80:81], v[68:69], v[60:61]
	;; [unrolled: 1-line block ×4, first 2 shown]
	v_ldexp_f64 v[76:77], v[74:75], -2
	v_add_f64 v[62:63], v[74:75], -v[62:63]
	v_add_f64 v[74:75], v[82:83], -v[80:81]
	;; [unrolled: 1-line block ×5, first 2 shown]
	v_add_f64 v[70:71], v[70:71], v[74:75]
	v_add_f64 v[74:75], v[80:81], -v[68:69]
	v_add_f64 v[60:61], v[60:61], -v[74:75]
	;; [unrolled: 1-line block ×5, first 2 shown]
	v_add_f64 v[60:61], v[60:61], v[74:75]
	v_fract_f64_e32 v[78:79], v[76:77]
	v_add_f64 v[72:73], v[62:63], v[82:83]
	v_add_f64 v[60:61], v[60:61], v[70:71]
	v_fma_f64 v[38:39], v[64:65], v[38:39], -v[68:69]
	v_add_f64 v[62:63], v[72:73], -v[62:63]
	v_add_f64 v[38:39], v[38:39], v[60:61]
	v_ldexp_f64 v[60:61], v[78:79], 2
	v_cmp_neq_f64_e64 vcc, |v[76:77]|, s[0:1]
	v_add_f64 v[62:63], v[82:83], -v[62:63]
	v_add_f64 v[38:39], v[62:63], v[38:39]
	v_cndmask_b32_e32 v61, 0, v61, vcc
	v_cndmask_b32_e32 v60, 0, v60, vcc
	v_add_f64 v[62:63], v[72:73], v[60:61]
	v_mov_b32_e32 v0, 0x40100000
	v_cmp_gt_f64_e32 vcc, 0, v[62:63]
	v_mov_b32_e32 v62, 0
	s_mov_b32 s4, 0x33145c07
	v_cndmask_b32_e32 v63, 0, v0, vcc
	v_add_f64 v[60:61], v[60:61], v[62:63]
	v_add_f64 v[64:65], v[72:73], v[60:61]
	v_cvt_i32_f64_e32 v0, v[64:65]
	v_cvt_f64_i32_e32 v[64:65], v0
	v_add_f64 v[60:61], v[60:61], -v[64:65]
	v_add_f64 v[64:65], v[72:73], v[60:61]
	v_cmp_le_f64_e32 vcc, 0.5, v[64:65]
	v_add_f64 v[60:61], v[64:65], -v[60:61]
	v_add_f64 v[60:61], v[72:73], -v[60:61]
	v_addc_co_u32_e64 v0, s[0:1], 0, v0, vcc
	scratch_store_dword off, v0, off offset:156 ; 4-byte Folded Spill
	v_mov_b32_e32 v0, 0x3ff00000
	v_cndmask_b32_e32 v63, 0, v0, vcc
	v_add_f64 v[38:39], v[38:39], v[60:61]
	v_add_f64 v[60:61], v[64:65], -v[62:63]
	s_mov_b32 s0, 0x54442d18
	v_add_f64 v[62:63], v[60:61], v[38:39]
	s_mov_b32 s1, 0x3ff921fb
	v_mul_f64 v[64:65], v[62:63], s[0:1]
	v_add_f64 v[60:61], v[62:63], -v[60:61]
	v_fma_f64 v[68:69], v[62:63], s[0:1], -v[64:65]
	s_mov_b32 s5, 0x3c91a626
	v_add_f64 v[38:39], v[38:39], -v[60:61]
	v_fmac_f64_e32 v[68:69], s[4:5], v[62:63]
	v_fmac_f64_e32 v[68:69], s[0:1], v[38:39]
	v_add_f64 v[46:47], v[64:65], v[68:69]
	v_add_f64 v[38:39], v[46:47], -v[64:65]
	v_add_f64 v[0:1], v[68:69], -v[38:39]
	scratch_store_dwordx2 off, v[0:1], off offset:164 ; 8-byte Folded Spill
	s_andn2_saveexec_b64 s[0:1], s[2:3]
	s_cbranch_execnz .LBB1_79
	s_branch .LBB1_80
.LBB1_78:
	s_andn2_saveexec_b64 s[0:1], s[2:3]
	s_cbranch_execz .LBB1_80
.LBB1_79:
	s_mov_b32 s2, 0x6dc9c883
	s_mov_b32 s3, 0x3fe45f30
	v_mul_f64 v[38:39], v[54:55], s[2:3]
	s_mov_b32 s2, 0x54442d18
	v_rndne_f64_e32 v[38:39], v[38:39]
	s_mov_b32 s3, 0xbff921fb
	v_fma_f64 v[60:61], s[2:3], v[38:39], v[54:55]
	s_mov_b32 s3, 0xbc91a626
	s_mov_b32 s2, 0x33145c00
	v_mul_f64 v[64:65], v[38:39], s[2:3]
	v_add_f64 v[70:71], v[60:61], v[64:65]
	v_fma_f64 v[62:63], s[2:3], v[38:39], v[60:61]
	s_mov_b32 s3, 0x3c91a626
	v_add_f64 v[60:61], v[60:61], -v[70:71]
	v_fma_f64 v[68:69], s[2:3], v[38:39], v[64:65]
	v_add_f64 v[60:61], v[60:61], v[64:65]
	v_add_f64 v[64:65], v[70:71], -v[62:63]
	v_add_f64 v[60:61], v[64:65], v[60:61]
	s_mov_b32 s2, 0x252049c0
	v_add_f64 v[64:65], v[60:61], -v[68:69]
	s_mov_b32 s3, 0xb97b839a
	v_fmac_f64_e32 v[64:65], s[2:3], v[38:39]
	v_add_f64 v[46:47], v[62:63], v[64:65]
	v_add_f64 v[62:63], v[46:47], -v[62:63]
	v_add_f64 v[0:1], v[64:65], -v[62:63]
	scratch_store_dwordx2 off, v[0:1], off offset:164 ; 8-byte Folded Spill
	v_cvt_i32_f64_e32 v0, v[38:39]
	scratch_store_dword off, v0, off offset:156 ; 4-byte Folded Spill
.LBB1_80:
	s_or_b64 exec, exec, s[0:1]
	s_mov_b32 s5, 0x3fb921fb
	s_mov_b32 s4, 0x54442d18
	s_mov_b32 s0, 0
	v_mul_f64 v[64:65], v[66:67], s[4:5]
	s_mov_b32 s1, 0x41d00000
	v_cmp_ngt_f64_e32 vcc, s[0:1], v[64:65]
	v_trig_preop_f64 v[80:81], v[64:65], 0
	v_trig_preop_f64 v[78:79], v[64:65], 1
	;; [unrolled: 1-line block ×3, first 2 shown]
                                        ; implicit-def: $vgpr0
                                        ; kill: killed $vgpr0
                                        ; implicit-def: $vgpr68_vgpr69
                                        ; implicit-def: $vgpr70_vgpr71
	s_and_saveexec_b64 s[0:1], vcc
	s_xor_b64 s[6:7], exec, s[0:1]
	s_cbranch_execz .LBB1_82
; %bb.81:
	s_mov_b32 s0, 0
	s_mov_b32 s1, 0x7b000000
	s_movk_i32 s2, 0xff80
	v_ldexp_f64 v[38:39], v[64:65], s2
	v_cmp_le_f64_e64 s[0:1], s[0:1], v[64:65]
	v_mov_b32_e32 v0, 0x40100000
	s_mov_b32 s5, 0x3ff921fb
	v_cndmask_b32_e64 v39, v65, v39, s[0:1]
	v_cndmask_b32_e64 v38, v64, v38, s[0:1]
	v_mul_f64 v[70:71], v[80:81], v[38:39]
	v_mul_f64 v[68:69], v[78:79], v[38:39]
	v_fma_f64 v[72:73], v[80:81], v[38:39], -v[70:71]
	v_add_f64 v[74:75], v[68:69], v[72:73]
	v_add_f64 v[88:89], v[74:75], -v[68:69]
	v_add_f64 v[72:73], v[72:73], -v[88:89]
	v_add_f64 v[88:89], v[74:75], -v[88:89]
	v_add_f64 v[88:89], v[68:69], -v[88:89]
	v_add_f64 v[72:73], v[72:73], v[88:89]
	v_fma_f64 v[68:69], v[78:79], v[38:39], -v[68:69]
	v_mul_f64 v[88:89], v[76:77], v[38:39]
	v_add_f64 v[90:91], v[88:89], v[68:69]
	v_add_f64 v[82:83], v[70:71], v[74:75]
	;; [unrolled: 1-line block ×3, first 2 shown]
	v_ldexp_f64 v[84:85], v[82:83], -2
	v_add_f64 v[70:71], v[82:83], -v[70:71]
	v_add_f64 v[82:83], v[92:93], -v[90:91]
	;; [unrolled: 1-line block ×5, first 2 shown]
	v_add_f64 v[72:73], v[72:73], v[82:83]
	v_add_f64 v[82:83], v[90:91], -v[88:89]
	v_add_f64 v[68:69], v[68:69], -v[82:83]
	;; [unrolled: 1-line block ×5, first 2 shown]
	v_add_f64 v[68:69], v[68:69], v[82:83]
	s_mov_b32 s0, 0
	v_fract_f64_e32 v[86:87], v[84:85]
	v_add_f64 v[74:75], v[70:71], v[92:93]
	v_add_f64 v[68:69], v[68:69], v[72:73]
	v_fma_f64 v[38:39], v[76:77], v[38:39], -v[88:89]
	s_mov_b32 s1, 0x7ff00000
	v_add_f64 v[70:71], v[74:75], -v[70:71]
	v_add_f64 v[38:39], v[38:39], v[68:69]
	v_ldexp_f64 v[68:69], v[86:87], 2
	v_cmp_neq_f64_e64 s[0:1], |v[84:85]|, s[0:1]
	v_add_f64 v[70:71], v[92:93], -v[70:71]
	v_add_f64 v[38:39], v[70:71], v[38:39]
	v_cndmask_b32_e64 v69, 0, v69, s[0:1]
	v_cndmask_b32_e64 v68, 0, v68, s[0:1]
	v_add_f64 v[70:71], v[74:75], v[68:69]
	v_cmp_gt_f64_e64 s[0:1], 0, v[70:71]
	v_mov_b32_e32 v70, 0
	s_nop 0
	v_cndmask_b32_e64 v71, 0, v0, s[0:1]
	v_add_f64 v[68:69], v[68:69], v[70:71]
	v_add_f64 v[72:73], v[74:75], v[68:69]
	v_cvt_i32_f64_e32 v0, v[72:73]
	v_cvt_f64_i32_e32 v[72:73], v0
	v_add_f64 v[68:69], v[68:69], -v[72:73]
	v_add_f64 v[72:73], v[74:75], v[68:69]
	v_cmp_le_f64_e64 s[0:1], 0.5, v[72:73]
	v_add_f64 v[68:69], v[72:73], -v[68:69]
	v_add_f64 v[68:69], v[74:75], -v[68:69]
	v_addc_co_u32_e64 v0, s[2:3], 0, v0, s[0:1]
	scratch_store_dword off, v0, off offset:172 ; 4-byte Folded Spill
	v_mov_b32_e32 v0, 0x3ff00000
	v_cndmask_b32_e64 v71, 0, v0, s[0:1]
	v_add_f64 v[38:39], v[38:39], v[68:69]
	v_add_f64 v[68:69], v[72:73], -v[70:71]
	v_add_f64 v[70:71], v[68:69], v[38:39]
	v_mul_f64 v[72:73], v[70:71], s[4:5]
	s_mov_b32 s0, 0x33145c07
	v_add_f64 v[68:69], v[70:71], -v[68:69]
	v_fma_f64 v[74:75], v[70:71], s[4:5], -v[72:73]
	s_mov_b32 s1, 0x3c91a626
	v_add_f64 v[38:39], v[38:39], -v[68:69]
	v_fmac_f64_e32 v[74:75], s[0:1], v[70:71]
	v_fmac_f64_e32 v[74:75], s[4:5], v[38:39]
	v_add_f64 v[68:69], v[72:73], v[74:75]
	v_add_f64 v[38:39], v[68:69], -v[72:73]
	v_add_f64 v[70:71], v[74:75], -v[38:39]
	s_andn2_saveexec_b64 s[0:1], s[6:7]
	s_cbranch_execz .LBB1_84
	s_branch .LBB1_83
.LBB1_82:
	s_andn2_saveexec_b64 s[0:1], s[6:7]
	s_cbranch_execz .LBB1_84
.LBB1_83:
	s_mov_b32 s2, 0x6dc9c883
	s_mov_b32 s3, 0x3fe45f30
	v_mul_f64 v[38:39], v[64:65], s[2:3]
	s_mov_b32 s2, 0x54442d18
	v_rndne_f64_e32 v[38:39], v[38:39]
	s_mov_b32 s3, 0xbff921fb
	v_fma_f64 v[68:69], s[2:3], v[38:39], v[64:65]
	s_mov_b32 s3, 0xbc91a626
	s_mov_b32 s2, 0x33145c00
	v_mul_f64 v[72:73], v[38:39], s[2:3]
	v_add_f64 v[82:83], v[68:69], v[72:73]
	v_fma_f64 v[70:71], s[2:3], v[38:39], v[68:69]
	s_mov_b32 s3, 0x3c91a626
	v_add_f64 v[68:69], v[68:69], -v[82:83]
	v_fma_f64 v[74:75], s[2:3], v[38:39], v[72:73]
	v_add_f64 v[68:69], v[68:69], v[72:73]
	v_add_f64 v[72:73], v[82:83], -v[70:71]
	v_add_f64 v[68:69], v[72:73], v[68:69]
	s_mov_b32 s2, 0x252049c0
	v_add_f64 v[72:73], v[68:69], -v[74:75]
	s_mov_b32 s3, 0xb97b839a
	v_fmac_f64_e32 v[72:73], s[2:3], v[38:39]
	v_add_f64 v[68:69], v[70:71], v[72:73]
	v_add_f64 v[70:71], v[68:69], -v[70:71]
	v_add_f64 v[70:71], v[72:73], -v[70:71]
	v_cvt_i32_f64_e32 v0, v[38:39]
	scratch_store_dword off, v0, off offset:172 ; 4-byte Folded Spill
.LBB1_84:
	s_or_b64 exec, exec, s[0:1]
                                        ; implicit-def: $vgpr120
                                        ; implicit-def: $vgpr22_vgpr23
                                        ; implicit-def: $vgpr16_vgpr17
	s_and_saveexec_b64 s[0:1], vcc
	s_xor_b64 s[2:3], exec, s[0:1]
	s_cbranch_execz .LBB1_86
; %bb.85:
	s_mov_b32 s0, 0
	s_mov_b32 s1, 0x7b000000
	s_movk_i32 s4, 0xff80
	v_ldexp_f64 v[38:39], v[64:65], s4
	v_cmp_le_f64_e32 vcc, s[0:1], v[64:65]
	s_mov_b32 s0, 0
	s_mov_b32 s1, 0x7ff00000
	v_cndmask_b32_e32 v39, v65, v39, vcc
	v_cndmask_b32_e32 v38, v64, v38, vcc
	v_mul_f64 v[74:75], v[80:81], v[38:39]
	v_mul_f64 v[72:73], v[78:79], v[38:39]
	v_fma_f64 v[80:81], v[80:81], v[38:39], -v[74:75]
	v_add_f64 v[82:83], v[72:73], v[80:81]
	v_add_f64 v[90:91], v[82:83], -v[72:73]
	v_add_f64 v[80:81], v[80:81], -v[90:91]
	;; [unrolled: 1-line block ×4, first 2 shown]
	v_fma_f64 v[72:73], v[78:79], v[38:39], -v[72:73]
	v_mul_f64 v[78:79], v[76:77], v[38:39]
	v_add_f64 v[80:81], v[80:81], v[90:91]
	v_add_f64 v[90:91], v[78:79], v[72:73]
	;; [unrolled: 1-line block ×4, first 2 shown]
	v_ldexp_f64 v[86:87], v[84:85], -2
	v_add_f64 v[74:75], v[84:85], -v[74:75]
	v_add_f64 v[84:85], v[92:93], -v[90:91]
	v_add_f64 v[80:81], v[80:81], -v[84:85]
	v_add_f64 v[84:85], v[92:93], -v[84:85]
	v_add_f64 v[84:85], v[90:91], -v[84:85]
	v_add_f64 v[80:81], v[80:81], v[84:85]
	v_add_f64 v[84:85], v[90:91], -v[78:79]
	v_add_f64 v[72:73], v[72:73], -v[84:85]
	;; [unrolled: 1-line block ×5, first 2 shown]
	v_add_f64 v[72:73], v[72:73], v[84:85]
	v_fract_f64_e32 v[88:89], v[86:87]
	v_add_f64 v[82:83], v[74:75], v[92:93]
	v_add_f64 v[72:73], v[72:73], v[80:81]
	v_fma_f64 v[38:39], v[76:77], v[38:39], -v[78:79]
	v_add_f64 v[74:75], v[82:83], -v[74:75]
	v_add_f64 v[38:39], v[38:39], v[72:73]
	v_ldexp_f64 v[72:73], v[88:89], 2
	v_cmp_neq_f64_e64 vcc, |v[86:87]|, s[0:1]
	v_add_f64 v[74:75], v[92:93], -v[74:75]
	v_add_f64 v[38:39], v[74:75], v[38:39]
	v_cndmask_b32_e32 v73, 0, v73, vcc
	v_cndmask_b32_e32 v72, 0, v72, vcc
	v_add_f64 v[74:75], v[82:83], v[72:73]
	v_mov_b32_e32 v0, 0x40100000
	v_cmp_gt_f64_e32 vcc, 0, v[74:75]
	v_mov_b32_e32 v74, 0
	s_mov_b32 s4, 0x33145c07
	v_cndmask_b32_e32 v75, 0, v0, vcc
	v_add_f64 v[72:73], v[72:73], v[74:75]
	v_add_f64 v[76:77], v[82:83], v[72:73]
	v_cvt_i32_f64_e32 v0, v[76:77]
	v_cvt_f64_i32_e32 v[76:77], v0
	v_add_f64 v[72:73], v[72:73], -v[76:77]
	v_add_f64 v[76:77], v[82:83], v[72:73]
	v_cmp_le_f64_e32 vcc, 0.5, v[76:77]
	v_add_f64 v[72:73], v[76:77], -v[72:73]
	v_add_f64 v[72:73], v[82:83], -v[72:73]
	v_addc_co_u32_e64 v120, s[0:1], 0, v0, vcc
	v_mov_b32_e32 v0, 0x3ff00000
	v_cndmask_b32_e32 v75, 0, v0, vcc
	v_add_f64 v[38:39], v[38:39], v[72:73]
	v_add_f64 v[72:73], v[76:77], -v[74:75]
	s_mov_b32 s0, 0x54442d18
	v_add_f64 v[74:75], v[72:73], v[38:39]
	s_mov_b32 s1, 0x3ff921fb
	v_mul_f64 v[76:77], v[74:75], s[0:1]
	v_add_f64 v[72:73], v[74:75], -v[72:73]
	v_fma_f64 v[78:79], v[74:75], s[0:1], -v[76:77]
	s_mov_b32 s5, 0x3c91a626
	v_add_f64 v[38:39], v[38:39], -v[72:73]
	v_fmac_f64_e32 v[78:79], s[4:5], v[74:75]
	v_fmac_f64_e32 v[78:79], s[0:1], v[38:39]
	v_add_f64 v[22:23], v[76:77], v[78:79]
	v_add_f64 v[38:39], v[22:23], -v[76:77]
	v_add_f64 v[16:17], v[78:79], -v[38:39]
	s_andn2_saveexec_b64 s[0:1], s[2:3]
	s_cbranch_execnz .LBB1_87
	s_branch .LBB1_88
.LBB1_86:
	s_andn2_saveexec_b64 s[0:1], s[2:3]
	s_cbranch_execz .LBB1_88
.LBB1_87:
	s_mov_b32 s2, 0x6dc9c883
	s_mov_b32 s3, 0x3fe45f30
	v_mul_f64 v[38:39], v[64:65], s[2:3]
	s_mov_b32 s2, 0x54442d18
	v_rndne_f64_e32 v[38:39], v[38:39]
	s_mov_b32 s3, 0xbff921fb
	v_fma_f64 v[72:73], s[2:3], v[38:39], v[64:65]
	s_mov_b32 s3, 0xbc91a626
	s_mov_b32 s2, 0x33145c00
	v_mul_f64 v[76:77], v[38:39], s[2:3]
	v_add_f64 v[80:81], v[72:73], v[76:77]
	v_fma_f64 v[74:75], s[2:3], v[38:39], v[72:73]
	s_mov_b32 s3, 0x3c91a626
	v_add_f64 v[72:73], v[72:73], -v[80:81]
	v_fma_f64 v[78:79], s[2:3], v[38:39], v[76:77]
	v_add_f64 v[72:73], v[72:73], v[76:77]
	v_add_f64 v[76:77], v[80:81], -v[74:75]
	v_add_f64 v[72:73], v[76:77], v[72:73]
	s_mov_b32 s2, 0x252049c0
	v_add_f64 v[76:77], v[72:73], -v[78:79]
	s_mov_b32 s3, 0xb97b839a
	v_fmac_f64_e32 v[76:77], s[2:3], v[38:39]
	v_add_f64 v[22:23], v[74:75], v[76:77]
	v_add_f64 v[74:75], v[22:23], -v[74:75]
	v_add_f64 v[16:17], v[76:77], -v[74:75]
	v_cvt_i32_f64_e32 v120, v[38:39]
.LBB1_88:
	s_or_b64 exec, exec, s[0:1]
	s_mov_b32 s0, 0x2955385e
	s_mov_b32 s1, 0x3fdf6a7a
	v_mul_f64 v[76:77], v[66:67], s[0:1]
	s_mov_b32 s0, 0
	s_mov_b32 s1, 0x41d00000
	v_cmp_ngt_f64_e32 vcc, s[0:1], v[76:77]
	v_trig_preop_f64 v[90:91], v[76:77], 0
	v_trig_preop_f64 v[88:89], v[76:77], 1
	;; [unrolled: 1-line block ×3, first 2 shown]
                                        ; implicit-def: $vgpr14
                                        ; implicit-def: $vgpr78_vgpr79
                                        ; implicit-def: $vgpr80_vgpr81
	s_and_saveexec_b64 s[0:1], vcc
	s_xor_b64 s[4:5], exec, s[0:1]
	s_cbranch_execz .LBB1_90
; %bb.89:
	s_mov_b32 s0, 0
	s_mov_b32 s1, 0x7b000000
	s_movk_i32 s2, 0xff80
	v_ldexp_f64 v[38:39], v[76:77], s2
	v_cmp_le_f64_e64 s[0:1], s[0:1], v[76:77]
	v_mov_b32_e32 v0, 0x40100000
	s_nop 0
	v_cndmask_b32_e64 v39, v77, v39, s[0:1]
	v_cndmask_b32_e64 v38, v76, v38, s[0:1]
	v_mul_f64 v[80:81], v[90:91], v[38:39]
	v_mul_f64 v[78:79], v[88:89], v[38:39]
	v_fma_f64 v[82:83], v[90:91], v[38:39], -v[80:81]
	v_add_f64 v[84:85], v[78:79], v[82:83]
	v_add_f64 v[98:99], v[84:85], -v[78:79]
	v_add_f64 v[82:83], v[82:83], -v[98:99]
	v_add_f64 v[98:99], v[84:85], -v[98:99]
	v_add_f64 v[98:99], v[78:79], -v[98:99]
	v_add_f64 v[82:83], v[82:83], v[98:99]
	v_fma_f64 v[78:79], v[88:89], v[38:39], -v[78:79]
	v_mul_f64 v[98:99], v[86:87], v[38:39]
	v_add_f64 v[100:101], v[98:99], v[78:79]
	v_add_f64 v[92:93], v[80:81], v[84:85]
	;; [unrolled: 1-line block ×3, first 2 shown]
	v_ldexp_f64 v[94:95], v[92:93], -2
	v_add_f64 v[80:81], v[92:93], -v[80:81]
	v_add_f64 v[92:93], v[102:103], -v[100:101]
	;; [unrolled: 1-line block ×5, first 2 shown]
	v_add_f64 v[82:83], v[82:83], v[92:93]
	v_add_f64 v[92:93], v[100:101], -v[98:99]
	v_add_f64 v[78:79], v[78:79], -v[92:93]
	;; [unrolled: 1-line block ×5, first 2 shown]
	v_add_f64 v[78:79], v[78:79], v[92:93]
	s_mov_b32 s0, 0
	v_fract_f64_e32 v[96:97], v[94:95]
	v_add_f64 v[84:85], v[80:81], v[102:103]
	v_add_f64 v[78:79], v[78:79], v[82:83]
	v_fma_f64 v[38:39], v[86:87], v[38:39], -v[98:99]
	s_mov_b32 s1, 0x7ff00000
	v_add_f64 v[80:81], v[84:85], -v[80:81]
	v_add_f64 v[38:39], v[38:39], v[78:79]
	v_ldexp_f64 v[78:79], v[96:97], 2
	v_cmp_neq_f64_e64 s[0:1], |v[94:95]|, s[0:1]
	v_add_f64 v[80:81], v[102:103], -v[80:81]
	v_add_f64 v[38:39], v[80:81], v[38:39]
	v_cndmask_b32_e64 v79, 0, v79, s[0:1]
	v_cndmask_b32_e64 v78, 0, v78, s[0:1]
	v_add_f64 v[80:81], v[84:85], v[78:79]
	v_cmp_gt_f64_e64 s[0:1], 0, v[80:81]
	v_mov_b32_e32 v80, 0
	s_nop 0
	v_cndmask_b32_e64 v81, 0, v0, s[0:1]
	v_add_f64 v[78:79], v[78:79], v[80:81]
	v_add_f64 v[82:83], v[84:85], v[78:79]
	v_cvt_i32_f64_e32 v0, v[82:83]
	v_cvt_f64_i32_e32 v[82:83], v0
	v_add_f64 v[78:79], v[78:79], -v[82:83]
	v_add_f64 v[82:83], v[84:85], v[78:79]
	v_cmp_le_f64_e64 s[0:1], 0.5, v[82:83]
	v_add_f64 v[78:79], v[82:83], -v[78:79]
	v_add_f64 v[78:79], v[84:85], -v[78:79]
	v_addc_co_u32_e64 v14, s[2:3], 0, v0, s[0:1]
	v_mov_b32_e32 v0, 0x3ff00000
	v_cndmask_b32_e64 v81, 0, v0, s[0:1]
	v_add_f64 v[38:39], v[38:39], v[78:79]
	v_add_f64 v[78:79], v[82:83], -v[80:81]
	s_mov_b32 s0, 0x54442d18
	v_add_f64 v[80:81], v[78:79], v[38:39]
	s_mov_b32 s1, 0x3ff921fb
	v_mul_f64 v[82:83], v[80:81], s[0:1]
	s_mov_b32 s2, 0x33145c07
	v_add_f64 v[78:79], v[80:81], -v[78:79]
	v_fma_f64 v[84:85], v[80:81], s[0:1], -v[82:83]
	s_mov_b32 s3, 0x3c91a626
	v_add_f64 v[38:39], v[38:39], -v[78:79]
	v_fmac_f64_e32 v[84:85], s[2:3], v[80:81]
	v_fmac_f64_e32 v[84:85], s[0:1], v[38:39]
	v_add_f64 v[78:79], v[82:83], v[84:85]
	v_add_f64 v[38:39], v[78:79], -v[82:83]
	v_add_f64 v[80:81], v[84:85], -v[38:39]
	s_andn2_saveexec_b64 s[0:1], s[4:5]
	s_cbranch_execz .LBB1_92
	s_branch .LBB1_91
.LBB1_90:
	s_andn2_saveexec_b64 s[0:1], s[4:5]
	s_cbranch_execz .LBB1_92
.LBB1_91:
	s_mov_b32 s2, 0x6dc9c883
	s_mov_b32 s3, 0x3fe45f30
	v_mul_f64 v[38:39], v[76:77], s[2:3]
	s_mov_b32 s2, 0x54442d18
	v_rndne_f64_e32 v[38:39], v[38:39]
	s_mov_b32 s3, 0xbff921fb
	v_fma_f64 v[78:79], s[2:3], v[38:39], v[76:77]
	s_mov_b32 s3, 0xbc91a626
	s_mov_b32 s2, 0x33145c00
	v_mul_f64 v[82:83], v[38:39], s[2:3]
	v_add_f64 v[92:93], v[78:79], v[82:83]
	v_fma_f64 v[80:81], s[2:3], v[38:39], v[78:79]
	s_mov_b32 s3, 0x3c91a626
	v_add_f64 v[78:79], v[78:79], -v[92:93]
	v_fma_f64 v[84:85], s[2:3], v[38:39], v[82:83]
	v_add_f64 v[78:79], v[78:79], v[82:83]
	v_add_f64 v[82:83], v[92:93], -v[80:81]
	v_add_f64 v[78:79], v[82:83], v[78:79]
	s_mov_b32 s2, 0x252049c0
	v_add_f64 v[82:83], v[78:79], -v[84:85]
	s_mov_b32 s3, 0xb97b839a
	v_fmac_f64_e32 v[82:83], s[2:3], v[38:39]
	v_add_f64 v[78:79], v[80:81], v[82:83]
	v_add_f64 v[80:81], v[78:79], -v[80:81]
	v_add_f64 v[80:81], v[82:83], -v[80:81]
	v_cvt_i32_f64_e32 v14, v[38:39]
.LBB1_92:
	s_or_b64 exec, exec, s[0:1]
                                        ; implicit-def: $vgpr15
                                        ; implicit-def: $vgpr82_vgpr83
                                        ; implicit-def: $vgpr84_vgpr85
	s_and_saveexec_b64 s[0:1], vcc
	s_xor_b64 s[2:3], exec, s[0:1]
	s_cbranch_execz .LBB1_94
; %bb.93:
	s_mov_b32 s0, 0
	s_mov_b32 s1, 0x7b000000
	s_movk_i32 s4, 0xff80
	v_ldexp_f64 v[38:39], v[76:77], s4
	v_cmp_le_f64_e32 vcc, s[0:1], v[76:77]
	s_mov_b32 s0, 0
	s_mov_b32 s1, 0x7ff00000
	v_cndmask_b32_e32 v39, v77, v39, vcc
	v_cndmask_b32_e32 v38, v76, v38, vcc
	v_mul_f64 v[84:85], v[90:91], v[38:39]
	v_mul_f64 v[82:83], v[88:89], v[38:39]
	v_fma_f64 v[90:91], v[90:91], v[38:39], -v[84:85]
	v_add_f64 v[92:93], v[82:83], v[90:91]
	v_add_f64 v[100:101], v[92:93], -v[82:83]
	v_add_f64 v[90:91], v[90:91], -v[100:101]
	;; [unrolled: 1-line block ×4, first 2 shown]
	v_fma_f64 v[82:83], v[88:89], v[38:39], -v[82:83]
	v_mul_f64 v[88:89], v[86:87], v[38:39]
	v_add_f64 v[90:91], v[90:91], v[100:101]
	v_add_f64 v[100:101], v[88:89], v[82:83]
	;; [unrolled: 1-line block ×4, first 2 shown]
	v_ldexp_f64 v[96:97], v[94:95], -2
	v_add_f64 v[84:85], v[94:95], -v[84:85]
	v_add_f64 v[94:95], v[102:103], -v[100:101]
	;; [unrolled: 1-line block ×5, first 2 shown]
	v_add_f64 v[90:91], v[90:91], v[94:95]
	v_add_f64 v[94:95], v[100:101], -v[88:89]
	v_add_f64 v[82:83], v[82:83], -v[94:95]
	;; [unrolled: 1-line block ×5, first 2 shown]
	v_add_f64 v[82:83], v[82:83], v[94:95]
	v_fract_f64_e32 v[98:99], v[96:97]
	v_add_f64 v[92:93], v[84:85], v[102:103]
	v_add_f64 v[82:83], v[82:83], v[90:91]
	v_fma_f64 v[38:39], v[86:87], v[38:39], -v[88:89]
	v_add_f64 v[84:85], v[92:93], -v[84:85]
	v_add_f64 v[38:39], v[38:39], v[82:83]
	v_ldexp_f64 v[82:83], v[98:99], 2
	v_cmp_neq_f64_e64 vcc, |v[96:97]|, s[0:1]
	v_add_f64 v[84:85], v[102:103], -v[84:85]
	v_add_f64 v[38:39], v[84:85], v[38:39]
	v_cndmask_b32_e32 v83, 0, v83, vcc
	v_cndmask_b32_e32 v82, 0, v82, vcc
	v_add_f64 v[84:85], v[92:93], v[82:83]
	v_mov_b32_e32 v0, 0x40100000
	v_cmp_gt_f64_e32 vcc, 0, v[84:85]
	v_mov_b32_e32 v84, 0
	s_mov_b32 s4, 0x33145c07
	v_cndmask_b32_e32 v85, 0, v0, vcc
	v_add_f64 v[82:83], v[82:83], v[84:85]
	v_add_f64 v[86:87], v[92:93], v[82:83]
	v_cvt_i32_f64_e32 v0, v[86:87]
	v_cvt_f64_i32_e32 v[86:87], v0
	v_add_f64 v[82:83], v[82:83], -v[86:87]
	v_add_f64 v[86:87], v[92:93], v[82:83]
	v_cmp_le_f64_e32 vcc, 0.5, v[86:87]
	v_add_f64 v[82:83], v[86:87], -v[82:83]
	v_add_f64 v[82:83], v[92:93], -v[82:83]
	v_addc_co_u32_e64 v15, s[0:1], 0, v0, vcc
	v_mov_b32_e32 v0, 0x3ff00000
	v_cndmask_b32_e32 v85, 0, v0, vcc
	v_add_f64 v[38:39], v[38:39], v[82:83]
	v_add_f64 v[82:83], v[86:87], -v[84:85]
	s_mov_b32 s0, 0x54442d18
	v_add_f64 v[84:85], v[82:83], v[38:39]
	s_mov_b32 s1, 0x3ff921fb
	v_mul_f64 v[86:87], v[84:85], s[0:1]
	v_add_f64 v[82:83], v[84:85], -v[82:83]
	v_fma_f64 v[88:89], v[84:85], s[0:1], -v[86:87]
	s_mov_b32 s5, 0x3c91a626
	v_add_f64 v[38:39], v[38:39], -v[82:83]
	v_fmac_f64_e32 v[88:89], s[4:5], v[84:85]
	v_fmac_f64_e32 v[88:89], s[0:1], v[38:39]
	v_add_f64 v[82:83], v[86:87], v[88:89]
	v_add_f64 v[38:39], v[82:83], -v[86:87]
	v_add_f64 v[84:85], v[88:89], -v[38:39]
	s_andn2_saveexec_b64 s[0:1], s[2:3]
	s_cbranch_execnz .LBB1_95
	s_branch .LBB1_96
.LBB1_94:
	s_andn2_saveexec_b64 s[0:1], s[2:3]
	s_cbranch_execz .LBB1_96
.LBB1_95:
	s_mov_b32 s2, 0x6dc9c883
	s_mov_b32 s3, 0x3fe45f30
	v_mul_f64 v[38:39], v[76:77], s[2:3]
	s_mov_b32 s2, 0x54442d18
	v_rndne_f64_e32 v[38:39], v[38:39]
	s_mov_b32 s3, 0xbff921fb
	v_fma_f64 v[82:83], s[2:3], v[38:39], v[76:77]
	s_mov_b32 s3, 0xbc91a626
	s_mov_b32 s2, 0x33145c00
	v_mul_f64 v[86:87], v[38:39], s[2:3]
	v_add_f64 v[90:91], v[82:83], v[86:87]
	v_fma_f64 v[84:85], s[2:3], v[38:39], v[82:83]
	s_mov_b32 s3, 0x3c91a626
	v_add_f64 v[82:83], v[82:83], -v[90:91]
	v_fma_f64 v[88:89], s[2:3], v[38:39], v[86:87]
	v_add_f64 v[82:83], v[82:83], v[86:87]
	v_add_f64 v[86:87], v[90:91], -v[84:85]
	v_add_f64 v[82:83], v[86:87], v[82:83]
	s_mov_b32 s2, 0x252049c0
	v_add_f64 v[86:87], v[82:83], -v[88:89]
	s_mov_b32 s3, 0xb97b839a
	v_fmac_f64_e32 v[86:87], s[2:3], v[38:39]
	v_add_f64 v[82:83], v[84:85], v[86:87]
	v_add_f64 v[84:85], v[82:83], -v[84:85]
	v_add_f64 v[84:85], v[86:87], -v[84:85]
	v_cvt_i32_f64_e32 v15, v[38:39]
.LBB1_96:
	s_or_b64 exec, exec, s[0:1]
	s_mov_b32 s0, 0x7f3321d2
	s_mov_b32 s1, 0x3fd2d97c
	v_mul_f64 v[98:99], v[66:67], s[0:1]
	s_mov_b32 s0, 0
	s_mov_b32 s1, 0x41d00000
	v_cmp_ngt_f64_e32 vcc, s[0:1], v[98:99]
	v_trig_preop_f64 v[90:91], v[98:99], 0
	v_trig_preop_f64 v[88:89], v[98:99], 1
	;; [unrolled: 1-line block ×3, first 2 shown]
                                        ; implicit-def: $vgpr38
                                        ; implicit-def: $vgpr104_vgpr105
                                        ; implicit-def: $vgpr106_vgpr107
	s_and_saveexec_b64 s[0:1], vcc
	s_xor_b64 s[4:5], exec, s[0:1]
	s_cbranch_execz .LBB1_98
; %bb.97:
	s_mov_b32 s0, 0
	s_mov_b32 s1, 0x7b000000
	s_movk_i32 s2, 0xff80
	v_ldexp_f64 v[38:39], v[98:99], s2
	v_cmp_le_f64_e64 s[0:1], s[0:1], v[98:99]
	v_mov_b32_e32 v0, 0x40100000
	s_nop 0
	v_cndmask_b32_e64 v39, v99, v39, s[0:1]
	v_cndmask_b32_e64 v38, v98, v38, s[0:1]
	v_mul_f64 v[94:95], v[90:91], v[38:39]
	v_mul_f64 v[92:93], v[88:89], v[38:39]
	v_fma_f64 v[96:97], v[90:91], v[38:39], -v[94:95]
	v_add_f64 v[100:101], v[92:93], v[96:97]
	v_add_f64 v[108:109], v[100:101], -v[92:93]
	v_add_f64 v[96:97], v[96:97], -v[108:109]
	v_add_f64 v[108:109], v[100:101], -v[108:109]
	v_add_f64 v[108:109], v[92:93], -v[108:109]
	v_add_f64 v[96:97], v[96:97], v[108:109]
	v_fma_f64 v[92:93], v[88:89], v[38:39], -v[92:93]
	v_mul_f64 v[108:109], v[86:87], v[38:39]
	v_add_f64 v[110:111], v[108:109], v[92:93]
	v_add_f64 v[102:103], v[94:95], v[100:101]
	;; [unrolled: 1-line block ×3, first 2 shown]
	v_ldexp_f64 v[104:105], v[102:103], -2
	v_add_f64 v[94:95], v[102:103], -v[94:95]
	v_add_f64 v[102:103], v[112:113], -v[110:111]
	;; [unrolled: 1-line block ×5, first 2 shown]
	v_add_f64 v[96:97], v[96:97], v[102:103]
	v_add_f64 v[102:103], v[110:111], -v[108:109]
	v_add_f64 v[92:93], v[92:93], -v[102:103]
	;; [unrolled: 1-line block ×5, first 2 shown]
	v_add_f64 v[92:93], v[92:93], v[102:103]
	s_mov_b32 s0, 0
	v_fract_f64_e32 v[106:107], v[104:105]
	v_add_f64 v[100:101], v[94:95], v[112:113]
	v_add_f64 v[92:93], v[92:93], v[96:97]
	v_fma_f64 v[38:39], v[86:87], v[38:39], -v[108:109]
	s_mov_b32 s1, 0x7ff00000
	v_add_f64 v[94:95], v[100:101], -v[94:95]
	v_add_f64 v[38:39], v[38:39], v[92:93]
	v_ldexp_f64 v[92:93], v[106:107], 2
	v_cmp_neq_f64_e64 s[0:1], |v[104:105]|, s[0:1]
	v_add_f64 v[94:95], v[112:113], -v[94:95]
	v_add_f64 v[38:39], v[94:95], v[38:39]
	v_cndmask_b32_e64 v93, 0, v93, s[0:1]
	v_cndmask_b32_e64 v92, 0, v92, s[0:1]
	v_add_f64 v[94:95], v[100:101], v[92:93]
	v_cmp_gt_f64_e64 s[0:1], 0, v[94:95]
	v_mov_b32_e32 v94, 0
	s_nop 0
	v_cndmask_b32_e64 v95, 0, v0, s[0:1]
	v_add_f64 v[92:93], v[92:93], v[94:95]
	v_add_f64 v[96:97], v[100:101], v[92:93]
	v_cvt_i32_f64_e32 v0, v[96:97]
	v_cvt_f64_i32_e32 v[96:97], v0
	v_add_f64 v[92:93], v[92:93], -v[96:97]
	v_add_f64 v[96:97], v[100:101], v[92:93]
	v_add_f64 v[92:93], v[96:97], -v[92:93]
	v_add_f64 v[92:93], v[100:101], -v[92:93]
	v_cmp_le_f64_e64 s[0:1], 0.5, v[96:97]
	v_add_f64 v[92:93], v[38:39], v[92:93]
	s_nop 0
	v_addc_co_u32_e64 v38, s[2:3], 0, v0, s[0:1]
	v_mov_b32_e32 v0, 0x3ff00000
	v_cndmask_b32_e64 v95, 0, v0, s[0:1]
	v_add_f64 v[94:95], v[96:97], -v[94:95]
	v_add_f64 v[96:97], v[94:95], v[92:93]
	s_mov_b32 s0, 0x54442d18
	v_add_f64 v[94:95], v[96:97], -v[94:95]
	s_mov_b32 s1, 0x3ff921fb
	v_add_f64 v[92:93], v[92:93], -v[94:95]
	v_mul_f64 v[94:95], v[96:97], s[0:1]
	s_mov_b32 s2, 0x33145c07
	v_fma_f64 v[100:101], v[96:97], s[0:1], -v[94:95]
	s_mov_b32 s3, 0x3c91a626
	v_fmac_f64_e32 v[100:101], s[2:3], v[96:97]
	v_fmac_f64_e32 v[100:101], s[0:1], v[92:93]
	v_add_f64 v[104:105], v[94:95], v[100:101]
	v_add_f64 v[92:93], v[104:105], -v[94:95]
	v_add_f64 v[106:107], v[100:101], -v[92:93]
	s_andn2_saveexec_b64 s[0:1], s[4:5]
	s_cbranch_execz .LBB1_100
	s_branch .LBB1_99
.LBB1_98:
	s_andn2_saveexec_b64 s[0:1], s[4:5]
	s_cbranch_execz .LBB1_100
.LBB1_99:
	s_mov_b32 s2, 0x6dc9c883
	s_mov_b32 s3, 0x3fe45f30
	v_mul_f64 v[38:39], v[98:99], s[2:3]
	s_mov_b32 s2, 0x54442d18
	v_rndne_f64_e32 v[38:39], v[38:39]
	s_mov_b32 s3, 0xbff921fb
	v_fma_f64 v[92:93], s[2:3], v[38:39], v[98:99]
	s_mov_b32 s3, 0xbc91a626
	s_mov_b32 s2, 0x33145c00
	v_mul_f64 v[96:97], v[38:39], s[2:3]
	v_add_f64 v[102:103], v[92:93], v[96:97]
	v_fma_f64 v[94:95], s[2:3], v[38:39], v[92:93]
	s_mov_b32 s3, 0x3c91a626
	v_add_f64 v[92:93], v[92:93], -v[102:103]
	v_fma_f64 v[100:101], s[2:3], v[38:39], v[96:97]
	v_add_f64 v[92:93], v[92:93], v[96:97]
	v_add_f64 v[96:97], v[102:103], -v[94:95]
	v_add_f64 v[92:93], v[96:97], v[92:93]
	s_mov_b32 s2, 0x252049c0
	v_add_f64 v[92:93], v[92:93], -v[100:101]
	s_mov_b32 s3, 0xb97b839a
	v_fmac_f64_e32 v[92:93], s[2:3], v[38:39]
	v_add_f64 v[104:105], v[94:95], v[92:93]
	v_add_f64 v[94:95], v[104:105], -v[94:95]
	v_add_f64 v[106:107], v[92:93], -v[94:95]
	v_cvt_i32_f64_e32 v38, v[38:39]
.LBB1_100:
	s_or_b64 exec, exec, s[0:1]
                                        ; implicit-def: $vgpr39
                                        ; implicit-def: $vgpr108_vgpr109
                                        ; implicit-def: $vgpr110_vgpr111
	s_and_saveexec_b64 s[0:1], vcc
	s_xor_b64 s[2:3], exec, s[0:1]
	s_cbranch_execz .LBB1_102
; %bb.101:
	s_mov_b32 s0, 0
	s_mov_b32 s1, 0x7b000000
	s_movk_i32 s4, 0xff80
	v_ldexp_f64 v[92:93], v[98:99], s4
	v_cmp_le_f64_e32 vcc, s[0:1], v[98:99]
	s_mov_b32 s0, 0
	s_mov_b32 s1, 0x7ff00000
	v_cndmask_b32_e32 v93, v99, v93, vcc
	v_cndmask_b32_e32 v92, v98, v92, vcc
	v_mul_f64 v[96:97], v[90:91], v[92:93]
	v_mul_f64 v[94:95], v[88:89], v[92:93]
	v_fma_f64 v[90:91], v[90:91], v[92:93], -v[96:97]
	v_add_f64 v[100:101], v[94:95], v[90:91]
	v_add_f64 v[112:113], v[100:101], -v[94:95]
	v_add_f64 v[90:91], v[90:91], -v[112:113]
	;; [unrolled: 1-line block ×4, first 2 shown]
	v_fma_f64 v[88:89], v[88:89], v[92:93], -v[94:95]
	v_mul_f64 v[94:95], v[86:87], v[92:93]
	v_add_f64 v[90:91], v[90:91], v[112:113]
	v_add_f64 v[112:113], v[94:95], v[88:89]
	;; [unrolled: 1-line block ×4, first 2 shown]
	v_ldexp_f64 v[108:109], v[102:103], -2
	v_add_f64 v[96:97], v[102:103], -v[96:97]
	v_add_f64 v[102:103], v[114:115], -v[112:113]
	;; [unrolled: 1-line block ×5, first 2 shown]
	v_add_f64 v[90:91], v[90:91], v[102:103]
	v_add_f64 v[102:103], v[112:113], -v[94:95]
	v_add_f64 v[88:89], v[88:89], -v[102:103]
	;; [unrolled: 1-line block ×4, first 2 shown]
	v_add_f64 v[88:89], v[88:89], v[102:103]
	v_fract_f64_e32 v[110:111], v[108:109]
	v_add_f64 v[88:89], v[88:89], v[90:91]
	v_fma_f64 v[86:87], v[86:87], v[92:93], -v[94:95]
	v_add_f64 v[96:97], v[100:101], -v[96:97]
	v_add_f64 v[86:87], v[86:87], v[88:89]
	v_ldexp_f64 v[88:89], v[110:111], 2
	v_cmp_neq_f64_e64 vcc, |v[108:109]|, s[0:1]
	v_add_f64 v[100:101], v[96:97], v[114:115]
	v_mov_b32_e32 v0, 0x40100000
	v_cndmask_b32_e32 v89, 0, v89, vcc
	v_cndmask_b32_e32 v88, 0, v88, vcc
	v_add_f64 v[90:91], v[100:101], v[88:89]
	v_cmp_gt_f64_e32 vcc, 0, v[90:91]
	v_mov_b32_e32 v90, 0
	v_add_f64 v[96:97], v[100:101], -v[96:97]
	v_cndmask_b32_e32 v91, 0, v0, vcc
	v_add_f64 v[88:89], v[88:89], v[90:91]
	v_add_f64 v[92:93], v[100:101], v[88:89]
	v_cvt_i32_f64_e32 v0, v[92:93]
	v_cvt_f64_i32_e32 v[92:93], v0
	v_add_f64 v[88:89], v[88:89], -v[92:93]
	v_add_f64 v[92:93], v[100:101], v[88:89]
	v_cmp_le_f64_e32 vcc, 0.5, v[92:93]
	v_add_f64 v[96:97], v[114:115], -v[96:97]
	v_add_f64 v[88:89], v[92:93], -v[88:89]
	v_addc_co_u32_e64 v39, s[0:1], 0, v0, vcc
	v_mov_b32_e32 v0, 0x3ff00000
	v_add_f64 v[86:87], v[96:97], v[86:87]
	v_add_f64 v[88:89], v[100:101], -v[88:89]
	v_cndmask_b32_e32 v91, 0, v0, vcc
	v_add_f64 v[86:87], v[86:87], v[88:89]
	v_add_f64 v[88:89], v[92:93], -v[90:91]
	v_add_f64 v[90:91], v[88:89], v[86:87]
	s_mov_b32 s0, 0x54442d18
	v_add_f64 v[88:89], v[90:91], -v[88:89]
	s_mov_b32 s1, 0x3ff921fb
	v_add_f64 v[86:87], v[86:87], -v[88:89]
	v_mul_f64 v[88:89], v[90:91], s[0:1]
	s_mov_b32 s4, 0x33145c07
	v_fma_f64 v[92:93], v[90:91], s[0:1], -v[88:89]
	s_mov_b32 s5, 0x3c91a626
	v_fmac_f64_e32 v[92:93], s[4:5], v[90:91]
	v_fmac_f64_e32 v[92:93], s[0:1], v[86:87]
	v_add_f64 v[108:109], v[88:89], v[92:93]
	v_add_f64 v[86:87], v[108:109], -v[88:89]
	v_add_f64 v[110:111], v[92:93], -v[86:87]
	s_andn2_saveexec_b64 s[0:1], s[2:3]
	s_cbranch_execnz .LBB1_103
	s_branch .LBB1_104
.LBB1_102:
	s_andn2_saveexec_b64 s[0:1], s[2:3]
	s_cbranch_execz .LBB1_104
.LBB1_103:
	s_mov_b32 s2, 0x6dc9c883
	s_mov_b32 s3, 0x3fe45f30
	v_mul_f64 v[86:87], v[98:99], s[2:3]
	s_mov_b32 s2, 0x54442d18
	v_rndne_f64_e32 v[86:87], v[86:87]
	s_mov_b32 s3, 0xbff921fb
	v_fma_f64 v[88:89], s[2:3], v[86:87], v[98:99]
	s_mov_b32 s3, 0xbc91a626
	s_mov_b32 s2, 0x33145c00
	v_mul_f64 v[92:93], v[86:87], s[2:3]
	v_add_f64 v[96:97], v[88:89], v[92:93]
	v_fma_f64 v[90:91], s[2:3], v[86:87], v[88:89]
	s_mov_b32 s3, 0x3c91a626
	v_add_f64 v[88:89], v[88:89], -v[96:97]
	v_fma_f64 v[94:95], s[2:3], v[86:87], v[92:93]
	v_add_f64 v[88:89], v[88:89], v[92:93]
	v_add_f64 v[92:93], v[96:97], -v[90:91]
	v_add_f64 v[88:89], v[92:93], v[88:89]
	s_mov_b32 s2, 0x252049c0
	v_add_f64 v[88:89], v[88:89], -v[94:95]
	s_mov_b32 s3, 0xb97b839a
	v_fmac_f64_e32 v[88:89], s[2:3], v[86:87]
	v_add_f64 v[108:109], v[90:91], v[88:89]
	v_add_f64 v[90:91], v[108:109], -v[90:91]
	v_add_f64 v[110:111], v[88:89], -v[90:91]
	v_cvt_i32_f64_e32 v39, v[86:87]
.LBB1_104:
	s_or_b64 exec, exec, s[0:1]
	s_mov_b32 s0, 0xe9bba775
	s_mov_b32 s1, 0x3fe5fdbb
	v_mul_f64 v[66:67], v[66:67], s[0:1]
	s_mov_b32 s0, 0
	s_mov_b32 s1, 0x41d00000
	v_cmp_ngt_f64_e32 vcc, s[0:1], v[66:67]
	v_trig_preop_f64 v[90:91], v[66:67], 0
	v_trig_preop_f64 v[88:89], v[66:67], 1
	;; [unrolled: 1-line block ×3, first 2 shown]
                                        ; implicit-def: $vgpr126
                                        ; implicit-def: $vgpr94_vgpr95
                                        ; implicit-def: $vgpr96_vgpr97
	s_and_saveexec_b64 s[0:1], vcc
	s_xor_b64 s[4:5], exec, s[0:1]
	s_cbranch_execz .LBB1_106
; %bb.105:
	s_mov_b32 s0, 0
	s_mov_b32 s1, 0x7b000000
	s_movk_i32 s2, 0xff80
	v_ldexp_f64 v[92:93], v[66:67], s2
	v_cmp_le_f64_e64 s[0:1], s[0:1], v[66:67]
	v_mov_b32_e32 v0, 0x40100000
	s_nop 0
	v_cndmask_b32_e64 v93, v67, v93, s[0:1]
	v_cndmask_b32_e64 v92, v66, v92, s[0:1]
	v_mul_f64 v[96:97], v[90:91], v[92:93]
	v_mul_f64 v[94:95], v[88:89], v[92:93]
	v_fma_f64 v[100:101], v[90:91], v[92:93], -v[96:97]
	v_add_f64 v[102:103], v[94:95], v[100:101]
	v_add_f64 v[118:119], v[102:103], -v[94:95]
	v_add_f64 v[100:101], v[100:101], -v[118:119]
	;; [unrolled: 1-line block ×4, first 2 shown]
	v_add_f64 v[112:113], v[96:97], v[102:103]
	v_add_f64 v[100:101], v[100:101], v[118:119]
	v_fma_f64 v[94:95], v[88:89], v[92:93], -v[94:95]
	v_mul_f64 v[118:119], v[86:87], v[92:93]
	v_add_f64 v[126:127], v[118:119], v[94:95]
	v_add_f64 v[96:97], v[112:113], -v[96:97]
	v_add_f64 v[42:43], v[126:127], v[100:101]
	v_add_f64 v[96:97], v[102:103], -v[96:97]
	v_add_f64 v[102:103], v[96:97], v[42:43]
	v_ldexp_f64 v[114:115], v[112:113], -2
	v_add_f64 v[96:97], v[102:103], -v[96:97]
	v_add_f64 v[112:113], v[42:43], -v[126:127]
	;; [unrolled: 1-line block ×6, first 2 shown]
	v_add_f64 v[42:43], v[100:101], v[42:43]
	v_add_f64 v[100:101], v[126:127], -v[118:119]
	v_add_f64 v[94:95], v[94:95], -v[100:101]
	;; [unrolled: 1-line block ×4, first 2 shown]
	v_add_f64 v[94:95], v[94:95], v[100:101]
	s_mov_b32 s0, 0
	v_fract_f64_e32 v[116:117], v[114:115]
	v_add_f64 v[42:43], v[94:95], v[42:43]
	v_fma_f64 v[92:93], v[86:87], v[92:93], -v[118:119]
	s_mov_b32 s1, 0x7ff00000
	v_add_f64 v[42:43], v[92:93], v[42:43]
	v_ldexp_f64 v[92:93], v[116:117], 2
	v_cmp_neq_f64_e64 s[0:1], |v[114:115]|, s[0:1]
	v_add_f64 v[42:43], v[96:97], v[42:43]
	s_nop 0
	v_cndmask_b32_e64 v93, 0, v93, s[0:1]
	v_cndmask_b32_e64 v92, 0, v92, s[0:1]
	v_add_f64 v[94:95], v[102:103], v[92:93]
	v_cmp_gt_f64_e64 s[0:1], 0, v[94:95]
	v_mov_b32_e32 v94, 0
	s_nop 0
	v_cndmask_b32_e64 v95, 0, v0, s[0:1]
	v_add_f64 v[92:93], v[92:93], v[94:95]
	v_add_f64 v[96:97], v[102:103], v[92:93]
	v_cvt_i32_f64_e32 v0, v[96:97]
	v_cvt_f64_i32_e32 v[96:97], v0
	v_add_f64 v[92:93], v[92:93], -v[96:97]
	v_add_f64 v[96:97], v[102:103], v[92:93]
	v_cmp_le_f64_e64 s[0:1], 0.5, v[96:97]
	v_add_f64 v[92:93], v[96:97], -v[92:93]
	v_add_f64 v[92:93], v[102:103], -v[92:93]
	v_addc_co_u32_e64 v126, s[2:3], 0, v0, s[0:1]
	v_mov_b32_e32 v0, 0x3ff00000
	v_cndmask_b32_e64 v95, 0, v0, s[0:1]
	v_add_f64 v[42:43], v[42:43], v[92:93]
	v_add_f64 v[92:93], v[96:97], -v[94:95]
	v_add_f64 v[94:95], v[92:93], v[42:43]
	s_mov_b32 s0, 0x54442d18
	v_add_f64 v[92:93], v[94:95], -v[92:93]
	s_mov_b32 s1, 0x3ff921fb
	v_add_f64 v[42:43], v[42:43], -v[92:93]
	v_mul_f64 v[92:93], v[94:95], s[0:1]
	s_mov_b32 s2, 0x33145c07
	v_fma_f64 v[96:97], v[94:95], s[0:1], -v[92:93]
	s_mov_b32 s3, 0x3c91a626
	v_fmac_f64_e32 v[96:97], s[2:3], v[94:95]
	v_fmac_f64_e32 v[96:97], s[0:1], v[42:43]
	v_add_f64 v[94:95], v[92:93], v[96:97]
	v_add_f64 v[42:43], v[94:95], -v[92:93]
	v_add_f64 v[96:97], v[96:97], -v[42:43]
.LBB1_106:
	s_andn2_saveexec_b64 s[0:1], s[4:5]
	s_cbranch_execz .LBB1_108
; %bb.107:
	s_mov_b32 s2, 0x6dc9c883
	s_mov_b32 s3, 0x3fe45f30
	v_mul_f64 v[42:43], v[66:67], s[2:3]
	s_mov_b32 s2, 0x54442d18
	v_rndne_f64_e32 v[42:43], v[42:43]
	s_mov_b32 s3, 0xbff921fb
	v_fma_f64 v[92:93], s[2:3], v[42:43], v[66:67]
	s_mov_b32 s3, 0xbc91a626
	s_mov_b32 s2, 0x33145c00
	v_mul_f64 v[94:95], v[42:43], s[2:3]
	v_add_f64 v[102:103], v[92:93], v[94:95]
	v_fma_f64 v[96:97], s[2:3], v[42:43], v[92:93]
	s_mov_b32 s3, 0x3c91a626
	v_add_f64 v[92:93], v[92:93], -v[102:103]
	v_fma_f64 v[100:101], s[2:3], v[42:43], v[94:95]
	v_add_f64 v[92:93], v[92:93], v[94:95]
	v_add_f64 v[94:95], v[102:103], -v[96:97]
	v_add_f64 v[92:93], v[94:95], v[92:93]
	s_mov_b32 s2, 0x252049c0
	v_add_f64 v[92:93], v[92:93], -v[100:101]
	s_mov_b32 s3, 0xb97b839a
	v_fmac_f64_e32 v[92:93], s[2:3], v[42:43]
	v_add_f64 v[94:95], v[96:97], v[92:93]
	v_add_f64 v[96:97], v[94:95], -v[96:97]
	v_add_f64 v[96:97], v[92:93], -v[96:97]
	v_cvt_i32_f64_e32 v126, v[42:43]
.LBB1_108:
	s_or_b64 exec, exec, s[0:1]
	s_mov_b64 s[4:5], 0x1000
	s_mov_b64 s[6:7], 0x1400
	;; [unrolled: 1-line block ×4, first 2 shown]
                                        ; implicit-def: $vgpr127
                                        ; implicit-def: $vgpr100_vgpr101
                                        ; implicit-def: $vgpr102_vgpr103
	s_and_saveexec_b64 s[0:1], vcc
	s_xor_b64 s[10:11], exec, s[0:1]
	s_cbranch_execz .LBB1_110
; %bb.109:
	s_mov_b32 s0, 0
	s_mov_b32 s1, 0x7b000000
	s_movk_i32 s12, 0xff80
	v_ldexp_f64 v[42:43], v[66:67], s12
	v_cmp_le_f64_e32 vcc, s[0:1], v[66:67]
	s_mov_b32 s0, 0
	s_mov_b32 s1, 0x7ff00000
	v_cndmask_b32_e32 v43, v67, v43, vcc
	v_cndmask_b32_e32 v42, v66, v42, vcc
	v_mul_f64 v[100:101], v[90:91], v[42:43]
	v_mul_f64 v[92:93], v[88:89], v[42:43]
	v_fma_f64 v[90:91], v[90:91], v[42:43], -v[100:101]
	v_add_f64 v[102:103], v[92:93], v[90:91]
	v_add_f64 v[118:119], v[102:103], -v[92:93]
	v_add_f64 v[90:91], v[90:91], -v[118:119]
	;; [unrolled: 1-line block ×3, first 2 shown]
	v_add_f64 v[112:113], v[100:101], v[102:103]
	v_add_f64 v[118:119], v[92:93], -v[118:119]
	v_fma_f64 v[88:89], v[88:89], v[42:43], -v[92:93]
	v_mul_f64 v[92:93], v[86:87], v[42:43]
	v_add_f64 v[90:91], v[90:91], v[118:119]
	v_add_f64 v[118:119], v[92:93], v[88:89]
	v_add_f64 v[100:101], v[112:113], -v[100:101]
	v_add_f64 v[48:49], v[118:119], v[90:91]
	v_add_f64 v[100:101], v[102:103], -v[100:101]
	v_add_f64 v[102:103], v[100:101], v[48:49]
	v_ldexp_f64 v[114:115], v[112:113], -2
	v_add_f64 v[100:101], v[102:103], -v[100:101]
	v_add_f64 v[112:113], v[48:49], -v[118:119]
	;; [unrolled: 1-line block ×6, first 2 shown]
	v_add_f64 v[48:49], v[90:91], v[48:49]
	v_add_f64 v[90:91], v[118:119], -v[92:93]
	v_add_f64 v[88:89], v[88:89], -v[90:91]
	;; [unrolled: 1-line block ×4, first 2 shown]
	v_add_f64 v[88:89], v[88:89], v[90:91]
	v_fract_f64_e32 v[116:117], v[114:115]
	v_add_f64 v[48:49], v[88:89], v[48:49]
	v_fma_f64 v[42:43], v[86:87], v[42:43], -v[92:93]
	v_add_f64 v[42:43], v[42:43], v[48:49]
	v_ldexp_f64 v[48:49], v[116:117], 2
	v_cmp_neq_f64_e64 vcc, |v[114:115]|, s[0:1]
	v_mov_b32_e32 v0, 0x40100000
	v_add_f64 v[42:43], v[100:101], v[42:43]
	v_cndmask_b32_e32 v49, 0, v49, vcc
	v_cndmask_b32_e32 v48, 0, v48, vcc
	v_add_f64 v[86:87], v[102:103], v[48:49]
	v_cmp_gt_f64_e32 vcc, 0, v[86:87]
	v_mov_b32_e32 v86, 0
	s_mov_b32 s12, 0x33145c07
	v_cndmask_b32_e32 v87, 0, v0, vcc
	v_add_f64 v[48:49], v[48:49], v[86:87]
	v_add_f64 v[88:89], v[102:103], v[48:49]
	v_cvt_i32_f64_e32 v0, v[88:89]
	v_cvt_f64_i32_e32 v[88:89], v0
	v_add_f64 v[48:49], v[48:49], -v[88:89]
	v_add_f64 v[88:89], v[102:103], v[48:49]
	v_cmp_le_f64_e32 vcc, 0.5, v[88:89]
	v_add_f64 v[48:49], v[88:89], -v[48:49]
	v_add_f64 v[48:49], v[102:103], -v[48:49]
	v_addc_co_u32_e64 v127, s[0:1], 0, v0, vcc
	v_mov_b32_e32 v0, 0x3ff00000
	v_cndmask_b32_e32 v87, 0, v0, vcc
	v_add_f64 v[42:43], v[42:43], v[48:49]
	v_add_f64 v[48:49], v[88:89], -v[86:87]
	v_add_f64 v[86:87], v[48:49], v[42:43]
	s_mov_b32 s0, 0x54442d18
	v_add_f64 v[48:49], v[86:87], -v[48:49]
	s_mov_b32 s1, 0x3ff921fb
	v_add_f64 v[42:43], v[42:43], -v[48:49]
	v_mul_f64 v[48:49], v[86:87], s[0:1]
	v_fma_f64 v[88:89], v[86:87], s[0:1], -v[48:49]
	s_mov_b32 s13, 0x3c91a626
	v_fmac_f64_e32 v[88:89], s[12:13], v[86:87]
	v_fmac_f64_e32 v[88:89], s[0:1], v[42:43]
	v_add_f64 v[100:101], v[48:49], v[88:89]
	v_add_f64 v[42:43], v[100:101], -v[48:49]
	v_add_f64 v[102:103], v[88:89], -v[42:43]
.LBB1_110:
	s_or_saveexec_b64 s[0:1], s[10:11]
	scratch_load_dwordx2 v[0:1], off, off   ; 8-byte Folded Reload
	s_waitcnt vmcnt(0)
	v_lshl_add_u64 v[34:35], v[0:1], 0, s[4:5]
	scratch_store_dwordx2 off, v[34:35], off offset:200 ; 8-byte Folded Spill
	v_lshl_add_u64 v[34:35], v[0:1], 0, s[6:7]
	scratch_store_dwordx2 off, v[34:35], off offset:192 ; 8-byte Folded Spill
	v_lshl_add_u64 v[34:35], v[0:1], 0, s[8:9]
	v_lshl_add_u64 v[0:1], v[0:1], 0, s[2:3]
	scratch_store_dwordx2 off, v[34:35], off offset:176 ; 8-byte Folded Spill
	scratch_store_dwordx2 off, v[0:1], off offset:184 ; 8-byte Folded Spill
	s_xor_b64 exec, exec, s[0:1]
	s_cbranch_execz .LBB1_112
; %bb.111:
	s_mov_b32 s2, 0x6dc9c883
	s_mov_b32 s3, 0x3fe45f30
	v_mul_f64 v[42:43], v[66:67], s[2:3]
	s_mov_b32 s2, 0x54442d18
	v_rndne_f64_e32 v[42:43], v[42:43]
	s_mov_b32 s3, 0xbff921fb
	v_fma_f64 v[48:49], s[2:3], v[42:43], v[66:67]
	s_mov_b32 s3, 0xbc91a626
	s_mov_b32 s2, 0x33145c00
	v_mul_f64 v[100:101], v[42:43], s[2:3]
	v_add_f64 v[114:115], v[48:49], v[100:101]
	v_fma_f64 v[102:103], s[2:3], v[42:43], v[48:49]
	s_mov_b32 s3, 0x3c91a626
	v_add_f64 v[48:49], v[48:49], -v[114:115]
	v_fma_f64 v[112:113], s[2:3], v[42:43], v[100:101]
	v_add_f64 v[48:49], v[48:49], v[100:101]
	v_add_f64 v[100:101], v[114:115], -v[102:103]
	v_add_f64 v[48:49], v[100:101], v[48:49]
	s_mov_b32 s2, 0x252049c0
	v_add_f64 v[48:49], v[48:49], -v[112:113]
	s_mov_b32 s3, 0xb97b839a
	v_fmac_f64_e32 v[48:49], s[2:3], v[42:43]
	v_add_f64 v[100:101], v[102:103], v[48:49]
	v_add_f64 v[102:103], v[100:101], -v[102:103]
	v_add_f64 v[102:103], v[48:49], -v[102:103]
	v_cvt_i32_f64_e32 v127, v[42:43]
.LBB1_112:
	s_or_b64 exec, exec, s[0:1]
	scratch_load_dwordx4 v[34:37], off, off offset:92 ; 16-byte Folded Reload
	scratch_load_dwordx4 v[72:75], off, off offset:60 ; 16-byte Folded Reload
	v_add_f64 v[116:117], v[24:25], -v[28:29]
	v_add_f64 v[112:113], v[24:25], v[28:29]
	v_mul_f64 v[28:29], v[104:105], v[104:105]
	v_mul_f64 v[24:25], v[28:29], 0.5
	v_add_f64 v[118:119], v[26:27], -v[30:31]
	v_add_f64 v[114:115], v[26:27], v[30:31]
	v_add_f64 v[30:31], -v[24:25], 1.0
	s_mov_b32 s0, 0x9037ab78
	v_add_f64 v[26:27], -v[30:31], 1.0
	s_mov_b32 s1, 0x3e21eeb6
	s_mov_b32 s4, 0x46cc5e42
	v_add_f64 v[26:27], v[26:27], -v[24:25]
	s_mov_b32 s5, 0xbda907db
	s_mov_b32 s6, 0xa17f65f6
	v_mov_b64_e32 v[24:25], s[0:1]
	s_mov_b32 s7, 0xbe927e4f
	v_fma_f64 v[42:43], s[4:5], v[28:29], v[24:25]
	s_mov_b32 s8, 0x19f4ec90
	v_fma_f64 v[42:43], v[28:29], v[42:43], s[6:7]
	s_mov_b32 s9, 0x3efa01a0
	s_mov_b32 s10, 0x16c16967
	v_fma_f64 v[42:43], v[28:29], v[42:43], s[8:9]
	s_mov_b32 s11, 0xbf56c16c
	;; [unrolled: 3-line block ×3, first 2 shown]
	s_mov_b32 s0, 0xb42fdfa7
	v_fma_f64 v[42:43], v[28:29], v[42:43], s[12:13]
	v_fma_f64 v[48:49], v[104:105], -v[106:107], v[26:27]
	v_mul_f64 v[26:27], v[28:29], v[28:29]
	s_mov_b32 s1, 0xbe5ae600
	v_fmac_f64_e32 v[48:49], v[26:27], v[42:43]
	v_mov_b64_e32 v[26:27], s[0:1]
	v_fma_f64 v[42:43], s[14:15], v[28:29], v[26:27]
	v_fma_f64 v[42:43], v[28:29], v[42:43], s[16:17]
	;; [unrolled: 1-line block ×4, first 2 shown]
	v_mul_f64 v[86:87], v[104:105], -v[28:29]
	v_mul_f64 v[88:89], v[106:107], 0.5
	v_fmac_f64_e32 v[88:89], v[86:87], v[42:43]
	v_mul_f64 v[42:43], v[108:109], v[108:109]
	v_fma_f64 v[28:29], v[28:29], v[88:89], -v[106:107]
	v_fma_f64 v[88:89], s[14:15], v[42:43], v[26:27]
	v_fma_f64 v[88:89], v[42:43], v[88:89], s[16:17]
	;; [unrolled: 1-line block ×4, first 2 shown]
	v_mul_f64 v[106:107], v[108:109], -v[42:43]
	v_mul_f64 v[90:91], v[110:111], 0.5
	v_fmac_f64_e32 v[90:91], v[106:107], v[88:89]
	v_mul_f64 v[88:89], v[42:43], 0.5
	v_add_f64 v[92:93], -v[88:89], 1.0
	v_add_f64 v[52:53], -v[92:93], 1.0
	v_add_f64 v[52:53], v[52:53], -v[88:89]
	v_fma_f64 v[88:89], v[42:43], v[90:91], -v[110:111]
	v_fma_f64 v[90:91], s[4:5], v[42:43], v[24:25]
	v_fma_f64 v[90:91], v[42:43], v[90:91], s[6:7]
	;; [unrolled: 1-line block ×4, first 2 shown]
	v_fma_f64 v[52:53], v[108:109], -v[110:111], v[52:53]
	v_fma_f64 v[90:91], v[42:43], v[90:91], s[12:13]
	v_mul_f64 v[42:43], v[42:43], v[42:43]
	s_mov_b32 s22, s12
	v_fmac_f64_e32 v[52:53], v[42:43], v[90:91]
	v_fmac_f64_e32 v[88:89], s[22:23], v[106:107]
	v_and_b32_e32 v0, 1, v39
	v_fmac_f64_e32 v[28:29], s[22:23], v[86:87]
	v_mov_b64_e32 v[62:63], v[4:5]
	v_add_f64 v[42:43], v[108:109], -v[88:89]
	v_add_f64 v[52:53], v[92:93], v[52:53]
	v_cmp_eq_u32_e32 vcc, 0, v0
	v_add_f64 v[88:89], v[4:5], -v[8:9]
	v_add_f64 v[28:29], v[104:105], -v[28:29]
	v_mov_b64_e32 v[60:61], v[2:3]
	v_and_b32_e32 v2, 1, v38
	s_mov_b32 s2, 0x667f3bcd
	v_cndmask_b32_e32 v0, v52, v42, vcc
	v_cndmask_b32_e32 v1, v53, v43, vcc
	v_add_f64 v[30:31], v[30:31], v[48:49]
	s_waitcnt vmcnt(1)
	v_add_f64 v[42:43], v[36:37], -v[124:125]
	s_waitcnt vmcnt(0)
	v_add_f64 v[90:91], v[20:21], -v[74:75]
	v_add_f64 v[92:93], -v[88:89], -v[90:91]
	v_add_f64 v[88:89], v[88:89], -v[90:91]
	v_cmp_eq_u32_e32 vcc, 0, v2
	v_xor_b32_e32 v2, 0x80000000, v29
	s_mov_b32 s3, 0x3fe6a09e
	v_add_f64 v[52:53], v[42:43], -v[118:119]
	v_add_f64 v[42:43], v[42:43], v[118:119]
	v_cndmask_b32_e32 v3, v28, v30, vcc
	v_cndmask_b32_e32 v2, v2, v31, vcc
	v_add_f64 v[28:29], v[60:61], -v[6:7]
	v_add_f64 v[30:31], v[18:19], -v[72:73]
	v_mul_f64 v[110:111], v[92:93], s[2:3]
	v_mul_f64 v[118:119], v[88:89], s[2:3]
	s_mov_b32 s24, 0
	v_lshlrev_b32_e32 v4, 30, v39
	v_fma_f64 v[48:49], 0, v[30:31], v[28:29]
	v_fma_f64 v[86:87], v[28:29], 0, -v[30:31]
	v_fma_f64 v[28:29], v[52:53], s[2:3], -v[110:111]
	;; [unrolled: 1-line block ×3, first 2 shown]
	s_mov_b32 s25, 0x7ff00000
	v_xor_b32_e32 v4, v4, v99
	s_brev_b32 s26, 1
	v_add_f64 v[92:93], v[34:35], -v[122:123]
	v_fma_f64 v[104:105], 0, v[30:31], v[28:29]
	v_fma_f64 v[106:107], v[28:29], 0, -v[30:31]
	v_cmp_lg_f64_e32 vcc, s[24:25], v[98:99]
	v_lshlrev_b32_e32 v5, 30, v38
	v_mov_b32_e32 v38, 0x7ff80000
	v_bitop3_b32 v1, v1, v4, s26 bitop3:0x78
	v_add_f64 v[98:99], v[116:117], -v[48:49]
	v_add_f64 v[108:109], v[92:93], -v[86:87]
	v_bitop3_b32 v2, v2, v5, s26 bitop3:0x78
	v_cndmask_b32_e32 v88, 0, v0, vcc
	v_cndmask_b32_e32 v89, v38, v1, vcc
	v_add_f64 v[90:91], v[98:99], v[104:105]
	v_add_f64 v[0:1], v[108:109], v[106:107]
	v_cndmask_b32_e32 v30, 0, v3, vcc
	v_cndmask_b32_e32 v31, v38, v2, vcc
	v_mul_f64 v[28:29], v[0:1], v[88:89]
	v_mul_f64 v[2:3], v[90:91], v[88:89]
	v_fmac_f64_e32 v[28:29], v[90:91], v[30:31]
	v_fma_f64 v[30:31], v[0:1], v[30:31], -v[2:3]
	v_mul_f64 v[0:1], v[78:79], v[78:79]
	v_mul_f64 v[2:3], v[0:1], 0.5
	v_add_f64 v[88:89], -v[2:3], 1.0
	v_add_f64 v[90:91], -v[88:89], 1.0
	v_add_f64 v[2:3], v[90:91], -v[2:3]
	v_fma_f64 v[90:91], s[4:5], v[0:1], v[24:25]
	v_fma_f64 v[90:91], v[0:1], v[90:91], s[6:7]
	v_fma_f64 v[90:91], v[0:1], v[90:91], s[8:9]
	v_fma_f64 v[90:91], v[0:1], v[90:91], s[10:11]
	v_fma_f64 v[90:91], v[0:1], v[90:91], s[12:13]
	v_fma_f64 v[2:3], v[78:79], -v[80:81], v[2:3]
	v_mul_f64 v[4:5], v[0:1], v[0:1]
	v_fmac_f64_e32 v[2:3], v[4:5], v[90:91]
	v_fma_f64 v[4:5], s[14:15], v[0:1], v[26:27]
	v_fma_f64 v[4:5], v[0:1], v[4:5], s[16:17]
	;; [unrolled: 1-line block ×3, first 2 shown]
	v_mov_b64_e32 v[58:59], v[8:9]
	v_fma_f64 v[4:5], v[0:1], v[4:5], s[20:21]
	v_mov_b64_e32 v[56:57], v[6:7]
	v_mul_f64 v[6:7], v[78:79], -v[0:1]
	v_mul_f64 v[90:91], v[80:81], 0.5
	v_fmac_f64_e32 v[90:91], v[6:7], v[4:5]
	v_mul_f64 v[4:5], v[82:83], v[82:83]
	v_fma_f64 v[0:1], v[0:1], v[90:91], -v[80:81]
	v_fma_f64 v[80:81], s[14:15], v[4:5], v[26:27]
	v_fma_f64 v[80:81], v[4:5], v[80:81], s[16:17]
	;; [unrolled: 1-line block ×4, first 2 shown]
	v_mul_f64 v[90:91], v[82:83], -v[4:5]
	v_mul_f64 v[8:9], v[84:85], 0.5
	v_mul_f64 v[10:11], v[4:5], 0.5
	v_fmac_f64_e32 v[8:9], v[90:91], v[80:81]
	v_add_f64 v[80:81], -v[10:11], 1.0
	v_add_f64 v[12:13], -v[80:81], 1.0
	v_add_f64 v[10:11], v[12:13], -v[10:11]
	v_fma_f64 v[12:13], s[4:5], v[4:5], v[24:25]
	v_fma_f64 v[12:13], v[4:5], v[12:13], s[6:7]
	;; [unrolled: 1-line block ×4, first 2 shown]
	v_fma_f64 v[8:9], v[4:5], v[8:9], -v[84:85]
	v_fma_f64 v[10:11], v[82:83], -v[84:85], v[10:11]
	v_fma_f64 v[12:13], v[4:5], v[12:13], s[12:13]
	v_mul_f64 v[4:5], v[4:5], v[4:5]
	v_fmac_f64_e32 v[10:11], v[4:5], v[12:13]
	v_fmac_f64_e32 v[8:9], s[22:23], v[90:91]
	v_add_f64 v[4:5], v[82:83], -v[8:9]
	v_add_f64 v[8:9], v[80:81], v[10:11]
	v_and_b32_e32 v10, 1, v15
	v_fmac_f64_e32 v[0:1], s[22:23], v[6:7]
	v_cmp_eq_u32_e32 vcc, 0, v10
	v_add_f64 v[0:1], v[78:79], -v[0:1]
	v_and_b32_e32 v6, 1, v14
	v_cndmask_b32_e32 v8, v8, v4, vcc
	v_cndmask_b32_e32 v9, v9, v5, vcc
	v_add_f64 v[2:3], v[88:89], v[2:3]
	v_cmp_eq_u32_e32 vcc, 0, v6
	v_xor_b32_e32 v1, 0x80000000, v1
	v_lshlrev_b32_e32 v6, 30, v15
	v_cndmask_b32_e32 v3, v1, v3, vcc
	v_xor_b32_e32 v6, v6, v77
	v_lshlrev_b32_e32 v7, 30, v14
	v_add_f64 v[4:5], v[116:117], v[48:49]
	v_fmac_f64_e32 v[118:119], s[2:3], v[42:43]
	v_cndmask_b32_e32 v2, v0, v2, vcc
	v_add_f64 v[0:1], v[92:93], v[86:87]
	v_fmac_f64_e32 v[110:111], s[2:3], v[52:53]
	v_cmp_lg_f64_e32 vcc, s[24:25], v[76:77]
	v_bitop3_b32 v3, v3, v7, s26 bitop3:0x78
	v_bitop3_b32 v7, v9, v6, s26 bitop3:0x78
	v_cndmask_b32_e32 v6, 0, v8, vcc
	v_cndmask_b32_e32 v7, v38, v7, vcc
	v_add_f64 v[8:9], v[4:5], -v[118:119]
	v_add_f64 v[10:11], v[0:1], -v[110:111]
	v_cndmask_b32_e32 v2, 0, v2, vcc
	v_cndmask_b32_e32 v3, v38, v3, vcc
	v_mul_f64 v[76:77], v[10:11], v[6:7]
	v_mul_f64 v[6:7], v[8:9], v[6:7]
	v_fmac_f64_e32 v[76:77], v[8:9], v[2:3]
	v_fma_f64 v[78:79], v[10:11], v[2:3], -v[6:7]
	v_mul_f64 v[2:3], v[68:69], v[68:69]
	v_mul_f64 v[6:7], v[2:3], 0.5
	v_add_f64 v[8:9], -v[6:7], 1.0
	v_add_f64 v[10:11], -v[8:9], 1.0
	v_add_f64 v[6:7], v[10:11], -v[6:7]
	v_fma_f64 v[10:11], s[4:5], v[2:3], v[24:25]
	v_fma_f64 v[10:11], v[2:3], v[10:11], s[6:7]
	;; [unrolled: 1-line block ×5, first 2 shown]
	v_fma_f64 v[6:7], v[68:69], -v[70:71], v[6:7]
	v_mul_f64 v[12:13], v[2:3], v[2:3]
	v_fmac_f64_e32 v[6:7], v[12:13], v[10:11]
	v_add_f64 v[6:7], v[8:9], v[6:7]
	scratch_load_dword v9, off, off offset:172 ; 4-byte Folded Reload
	v_fma_f64 v[10:11], s[14:15], v[2:3], v[26:27]
	v_fma_f64 v[10:11], v[2:3], v[10:11], s[16:17]
	;; [unrolled: 1-line block ×4, first 2 shown]
	v_mul_f64 v[12:13], v[68:69], -v[2:3]
	v_mul_f64 v[14:15], v[70:71], 0.5
	v_fmac_f64_e32 v[14:15], v[12:13], v[10:11]
	v_mul_f64 v[10:11], v[22:23], v[22:23]
	v_fma_f64 v[2:3], v[2:3], v[14:15], -v[70:71]
	v_fma_f64 v[14:15], s[14:15], v[10:11], v[26:27]
	v_fma_f64 v[14:15], v[10:11], v[14:15], s[16:17]
	;; [unrolled: 1-line block ×4, first 2 shown]
	v_mul_f64 v[42:43], v[22:23], -v[10:11]
	v_mul_f64 v[48:49], v[16:17], 0.5
	v_fmac_f64_e32 v[48:49], v[42:43], v[14:15]
	v_mul_f64 v[14:15], v[10:11], 0.5
	v_add_f64 v[52:53], -v[14:15], 1.0
	v_add_f64 v[70:71], -v[52:53], 1.0
	v_add_f64 v[14:15], v[70:71], -v[14:15]
	v_fma_f64 v[48:49], v[10:11], v[48:49], -v[16:17]
	v_fma_f64 v[14:15], v[22:23], -v[16:17], v[14:15]
	v_add_f64 v[16:17], v[18:19], v[72:73]
	v_add_f64 v[18:19], v[20:21], v[74:75]
	scratch_load_dwordx2 v[20:21], off, off offset:148 ; 8-byte Folded Reload
	v_fma_f64 v[70:71], s[4:5], v[10:11], v[24:25]
	v_fma_f64 v[70:71], v[10:11], v[70:71], s[6:7]
	;; [unrolled: 1-line block ×5, first 2 shown]
	v_mul_f64 v[10:11], v[10:11], v[10:11]
	v_fmac_f64_e32 v[14:15], v[10:11], v[70:71]
	v_fmac_f64_e32 v[48:49], s[22:23], v[42:43]
	v_and_b32_e32 v39, 1, v120
	v_fmac_f64_e32 v[2:3], s[22:23], v[12:13]
	v_add_f64 v[10:11], v[22:23], -v[48:49]
	v_add_f64 v[14:15], v[52:53], v[14:15]
	v_cmp_eq_u32_e32 vcc, 0, v39
	v_add_f64 v[2:3], v[68:69], -v[2:3]
	v_xor_b32_e32 v3, 0x80000000, v3
	v_cndmask_b32_e32 v10, v14, v10, vcc
	v_cndmask_b32_e32 v11, v15, v11, vcc
	v_add_f64 v[0:1], v[0:1], v[110:111]
	v_add_f64 v[4:5], v[4:5], v[118:119]
	s_waitcnt vmcnt(1)
	v_and_b32_e32 v8, 1, v9
	v_cmp_eq_u32_e32 vcc, 0, v8
	s_nop 1
	v_cndmask_b32_e32 v3, v3, v7, vcc
	v_lshlrev_b32_e32 v7, 30, v9
	v_add_f64 v[8:9], v[34:35], v[122:123]
	scratch_load_dwordx2 v[34:35], off, off offset:164 ; 8-byte Folded Reload
	v_cndmask_b32_e32 v2, v2, v6, vcc
	v_lshlrev_b32_e32 v6, 30, v120
	v_xor_b32_e32 v6, v6, v65
	v_bitop3_b32 v3, v3, v7, s26 bitop3:0x78
	v_cmp_lg_f64_e32 vcc, s[24:25], v[64:65]
	v_bitop3_b32 v7, v11, v6, s26 bitop3:0x78
	s_waitcnt vmcnt(0)
	v_mul_f64 v[48:49], v[34:35], 0.5
	v_cndmask_b32_e32 v6, 0, v10, vcc
	v_cndmask_b32_e32 v7, v38, v7, vcc
	;; [unrolled: 1-line block ×4, first 2 shown]
	v_mul_f64 v[64:65], v[0:1], v[6:7]
	v_fmac_f64_e32 v[64:65], v[4:5], v[2:3]
	v_mul_f64 v[4:5], v[4:5], v[6:7]
	v_fma_f64 v[68:69], v[0:1], v[2:3], -v[4:5]
	v_mul_f64 v[0:1], v[40:41], v[40:41]
	v_mul_f64 v[2:3], v[0:1], 0.5
	v_add_f64 v[12:13], -v[2:3], 1.0
	v_add_f64 v[6:7], -v[12:13], 1.0
	v_add_f64 v[2:3], v[6:7], -v[2:3]
	v_fma_f64 v[6:7], s[4:5], v[0:1], v[24:25]
	v_fma_f64 v[6:7], v[0:1], v[6:7], s[6:7]
	;; [unrolled: 1-line block ×4, first 2 shown]
	v_mul_f64 v[4:5], v[0:1], v[0:1]
	v_fma_f64 v[6:7], v[0:1], v[6:7], s[12:13]
	v_fma_f64 v[2:3], v[40:41], -v[20:21], v[2:3]
	v_fmac_f64_e32 v[2:3], v[4:5], v[6:7]
	v_fma_f64 v[4:5], s[14:15], v[0:1], v[26:27]
	v_fma_f64 v[4:5], v[0:1], v[4:5], s[16:17]
	;; [unrolled: 1-line block ×3, first 2 shown]
	v_mul_f64 v[14:15], v[40:41], -v[0:1]
	v_fma_f64 v[4:5], v[0:1], v[4:5], s[20:21]
	v_mul_f64 v[6:7], v[20:21], 0.5
	v_fmac_f64_e32 v[6:7], v[14:15], v[4:5]
	v_fma_f64 v[0:1], v[0:1], v[6:7], -v[20:21]
	v_mul_f64 v[20:21], v[46:47], v[46:47]
	v_fma_f64 v[42:43], s[14:15], v[20:21], v[26:27]
	v_fma_f64 v[42:43], v[20:21], v[42:43], s[16:17]
	;; [unrolled: 1-line block ×3, first 2 shown]
	v_mul_f64 v[22:23], v[46:47], -v[20:21]
	v_fma_f64 v[42:43], v[20:21], v[42:43], s[20:21]
	v_fmac_f64_e32 v[48:49], v[22:23], v[42:43]
	v_mul_f64 v[42:43], v[20:21], 0.5
	v_add_f64 v[52:53], -v[42:43], 1.0
	v_add_f64 v[6:7], v[62:63], v[58:59]
	v_add_f64 v[58:59], -v[52:53], 1.0
	v_add_f64 v[42:43], v[58:59], -v[42:43]
	v_fma_f64 v[48:49], v[20:21], v[48:49], -v[34:35]
	v_fma_f64 v[42:43], v[46:47], -v[34:35], v[42:43]
	scratch_load_dword v34, off, off offset:140 ; 4-byte Folded Reload
	v_fma_f64 v[58:59], s[4:5], v[20:21], v[24:25]
	v_fma_f64 v[58:59], v[20:21], v[58:59], s[6:7]
	v_fmac_f64_e32 v[0:1], s[22:23], v[14:15]
	v_fma_f64 v[58:59], v[20:21], v[58:59], s[8:9]
	v_add_f64 v[0:1], v[40:41], -v[0:1]
	v_fma_f64 v[58:59], v[20:21], v[58:59], s[10:11]
	v_add_f64 v[2:3], v[12:13], v[2:3]
	v_xor_b32_e32 v1, 0x80000000, v1
	v_fma_f64 v[58:59], v[20:21], v[58:59], s[12:13]
	v_mul_f64 v[20:21], v[20:21], v[20:21]
	v_fmac_f64_e32 v[42:43], v[20:21], v[58:59]
	v_fmac_f64_e32 v[48:49], s[22:23], v[22:23]
	v_add_f64 v[22:23], v[52:53], v[42:43]
	v_add_f64 v[10:11], v[36:37], v[124:125]
	;; [unrolled: 1-line block ×3, first 2 shown]
	v_add_f64 v[12:13], v[10:11], -v[6:7]
	v_add_f64 v[14:15], v[114:115], -v[18:19]
	v_fma_f64 v[56:57], 0, v[14:15], v[12:13]
	v_add_f64 v[62:63], v[8:9], -v[4:5]
	v_fma_f64 v[12:13], v[12:13], 0, -v[14:15]
	v_add_f64 v[20:21], v[112:113], -v[16:17]
	v_add_f64 v[14:15], v[62:63], -v[12:13]
	v_add_f64 v[6:7], v[10:11], v[6:7]
	v_add_f64 v[16:17], v[112:113], v[16:17]
	;; [unrolled: 1-line block ×4, first 2 shown]
	v_add_f64 v[8:9], v[4:5], -v[6:7]
	v_add_f64 v[4:5], v[4:5], v[6:7]
	v_mul_f64 v[6:7], v[94:95], v[94:95]
	scratch_load_dwordx2 v[36:37], off, off offset:112 ; 8-byte Folded Reload
	scratch_load_dwordx2 v[40:41], off, off offset:120 ; 8-byte Folded Reload
	s_waitcnt vmcnt(2)
	v_and_b32_e32 v39, 1, v34
	v_cmp_eq_u32_e32 vcc, 0, v39
	v_lshlrev_b32_e32 v39, 30, v34
	scratch_load_dword v34, off, off offset:156 ; 4-byte Folded Reload
	v_cndmask_b32_e32 v1, v1, v3, vcc
	v_cndmask_b32_e32 v0, v0, v2, vcc
	v_bitop3_b32 v1, v1, v39, s26 bitop3:0x78
	v_cmp_lg_f64_e32 vcc, s[24:25], v[54:55]
	v_add_f64 v[2:3], v[20:21], -v[56:57]
	s_waitcnt vmcnt(0)
	v_and_b32_e32 v39, 1, v34
	v_cndmask_b32_e32 v58, 0, v0, vcc
	v_cndmask_b32_e32 v59, v38, v1, vcc
	v_add_f64 v[0:1], v[46:47], -v[48:49]
	v_cmp_eq_u32_e64 s[0:1], 0, v39
	s_nop 1
	v_cndmask_b32_e64 v0, v22, v0, s[0:1]
	v_lshlrev_b32_e32 v22, 30, v34
	scratch_load_dword v34, off, off offset:108 ; 4-byte Folded Reload
	v_cndmask_b32_e64 v1, v23, v1, s[0:1]
	v_xor_b32_e32 v22, v22, v55
	v_bitop3_b32 v1, v1, v22, s26 bitop3:0x78
	v_cndmask_b32_e32 v22, 0, v0, vcc
	v_cndmask_b32_e32 v23, v38, v1, vcc
	v_mul_f64 v[0:1], v[14:15], v[22:23]
	v_fmac_f64_e32 v[0:1], v[2:3], v[58:59]
	v_mul_f64 v[2:3], v[2:3], v[22:23]
	v_fma_f64 v[2:3], v[14:15], v[58:59], -v[2:3]
	v_add_f64 v[14:15], v[20:21], v[56:57]
	v_mul_f64 v[20:21], v[36:37], v[36:37]
	v_mul_f64 v[22:23], v[20:21], 0.5
	v_fma_f64 v[52:53], s[4:5], v[20:21], v[24:25]
	v_add_f64 v[42:43], -v[22:23], 1.0
	v_fma_f64 v[52:53], v[20:21], v[52:53], s[6:7]
	v_fma_f64 v[52:53], v[20:21], v[52:53], s[8:9]
	v_add_f64 v[54:55], -v[42:43], 1.0
	v_fma_f64 v[52:53], v[20:21], v[52:53], s[10:11]
	v_add_f64 v[22:23], v[54:55], -v[22:23]
	v_mul_f64 v[48:49], v[20:21], v[20:21]
	v_fma_f64 v[52:53], v[20:21], v[52:53], s[12:13]
	v_fma_f64 v[22:23], v[36:37], -v[40:41], v[22:23]
	v_fmac_f64_e32 v[22:23], v[48:49], v[52:53]
	v_fma_f64 v[48:49], s[14:15], v[20:21], v[26:27]
	v_fma_f64 v[48:49], v[20:21], v[48:49], s[16:17]
	;; [unrolled: 1-line block ×3, first 2 shown]
	v_add_f64 v[22:23], v[42:43], v[22:23]
	v_mul_f64 v[42:43], v[36:37], -v[20:21]
	v_fma_f64 v[48:49], v[20:21], v[48:49], s[20:21]
	v_mul_f64 v[52:53], v[40:41], 0.5
	v_fmac_f64_e32 v[52:53], v[42:43], v[48:49]
	v_fma_f64 v[20:21], v[20:21], v[52:53], -v[40:41]
	v_fmac_f64_e32 v[20:21], s[22:23], v[42:43]
	v_add_f64 v[20:21], v[36:37], -v[20:21]
	scratch_load_dwordx2 v[36:37], off, off offset:132 ; 8-byte Folded Reload
	v_xor_b32_e32 v21, 0x80000000, v21
	scratch_load_dwordx2 v[40:41], off, off offset:76 ; 8-byte Folded Reload
	s_waitcnt vmcnt(2)
	v_and_b32_e32 v39, 1, v34
	v_cmp_eq_u32_e32 vcc, 0, v39
	s_waitcnt vmcnt(0)
	v_mul_f64 v[10:11], v[40:41], v[40:41]
	v_cndmask_b32_e32 v20, v20, v22, vcc
	v_lshlrev_b32_e32 v22, 30, v34
	scratch_load_dword v34, off, off offset:128 ; 4-byte Folded Reload
	v_cndmask_b32_e32 v21, v21, v23, vcc
	v_bitop3_b32 v21, v21, v22, s26 bitop3:0x78
	v_add_f64 v[22:23], v[62:63], v[12:13]
	v_mul_f64 v[12:13], v[50:51], v[50:51]
	v_fma_f64 v[46:47], s[14:15], v[12:13], v[26:27]
	v_fma_f64 v[46:47], v[12:13], v[46:47], s[16:17]
	;; [unrolled: 1-line block ×3, first 2 shown]
	v_mul_f64 v[42:43], v[50:51], -v[12:13]
	v_fma_f64 v[46:47], v[12:13], v[46:47], s[20:21]
	v_fma_f64 v[54:55], s[4:5], v[12:13], v[24:25]
	;; [unrolled: 1-line block ×5, first 2 shown]
	v_mul_f64 v[52:53], v[12:13], v[12:13]
	v_cmp_lg_f64_e32 vcc, s[24:25], v[44:45]
	s_waitcnt vmcnt(0)
	v_and_b32_e32 v39, 1, v34
	v_cmp_eq_u32_e64 s[0:1], 0, v39
	v_lshlrev_b32_e32 v39, 30, v34
	scratch_load_dwordx2 v[34:35], off, off offset:44 ; 8-byte Folded Reload
	v_mul_f64 v[48:49], v[36:37], 0.5
	v_fmac_f64_e32 v[48:49], v[42:43], v[46:47]
	v_fma_f64 v[46:47], v[12:13], v[48:49], -v[36:37]
	v_fmac_f64_e32 v[46:47], s[22:23], v[42:43]
	v_add_f64 v[42:43], v[50:51], -v[46:47]
	v_mul_f64 v[46:47], v[12:13], 0.5
	v_add_f64 v[48:49], -v[46:47], 1.0
	v_fma_f64 v[12:13], v[12:13], v[54:55], s[12:13]
	v_add_f64 v[54:55], -v[48:49], 1.0
	v_add_f64 v[46:47], v[54:55], -v[46:47]
	v_fma_f64 v[46:47], v[50:51], -v[36:37], v[46:47]
	v_fmac_f64_e32 v[46:47], v[52:53], v[12:13]
	v_add_f64 v[12:13], v[48:49], v[46:47]
	v_cndmask_b32_e64 v13, v13, v43, s[0:1]
	v_xor_b32_e32 v39, v39, v45
	v_cndmask_b32_e64 v12, v12, v42, s[0:1]
	v_bitop3_b32 v13, v13, v39, s26 bitop3:0x78
	v_cndmask_b32_e32 v42, 0, v12, vcc
	v_cndmask_b32_e32 v43, v38, v13, vcc
	;; [unrolled: 1-line block ×4, first 2 shown]
	v_mul_f64 v[12:13], v[22:23], v[42:43]
	v_fmac_f64_e32 v[12:13], v[14:15], v[20:21]
	v_mul_f64 v[14:15], v[14:15], v[42:43]
	v_fma_f64 v[14:15], v[22:23], v[20:21], -v[14:15]
	scratch_load_dword v52, off, off offset:20 ; 4-byte Folded Reload
	v_add_f64 v[20:21], v[16:17], -v[18:19]
	s_waitcnt vmcnt(1)
	v_mul_f64 v[22:23], v[34:35], v[34:35]
	v_mul_f64 v[42:43], v[22:23], 0.5
	v_add_f64 v[44:45], -v[42:43], 1.0
	v_add_f64 v[50:51], -v[44:45], 1.0
	v_add_f64 v[42:43], v[50:51], -v[42:43]
	scratch_load_dwordx2 v[50:51], off, off offset:28 ; 8-byte Folded Reload
	v_fma_f64 v[48:49], s[4:5], v[22:23], v[24:25]
	v_fma_f64 v[48:49], v[22:23], v[48:49], s[6:7]
	;; [unrolled: 1-line block ×4, first 2 shown]
	v_mul_f64 v[46:47], v[22:23], v[22:23]
	v_fma_f64 v[48:49], v[22:23], v[48:49], s[12:13]
	s_waitcnt vmcnt(1)
	v_and_b32_e32 v39, 1, v52
	v_cmp_eq_u32_e32 vcc, 0, v39
	v_lshlrev_b32_e32 v36, 30, v52
	v_and_b32_e32 v39, 1, v126
	s_waitcnt vmcnt(0)
	v_fma_f64 v[42:43], v[34:35], -v[50:51], v[42:43]
	v_fmac_f64_e32 v[42:43], v[46:47], v[48:49]
	v_fma_f64 v[46:47], s[14:15], v[22:23], v[26:27]
	v_fma_f64 v[46:47], v[22:23], v[46:47], s[16:17]
	;; [unrolled: 1-line block ×3, first 2 shown]
	v_add_f64 v[42:43], v[44:45], v[42:43]
	v_mul_f64 v[44:45], v[34:35], -v[22:23]
	v_fma_f64 v[46:47], v[22:23], v[46:47], s[20:21]
	v_mul_f64 v[48:49], v[50:51], 0.5
	v_fmac_f64_e32 v[48:49], v[44:45], v[46:47]
	v_fma_f64 v[22:23], v[22:23], v[48:49], -v[50:51]
	v_fmac_f64_e32 v[22:23], s[22:23], v[44:45]
	v_add_f64 v[22:23], v[34:35], -v[22:23]
	scratch_load_dword v34, off, off offset:52 ; 4-byte Folded Reload
	scratch_load_dwordx2 v[50:51], off, off offset:84 ; 8-byte Folded Reload
	v_xor_b32_e32 v23, 0x80000000, v23
	v_cndmask_b32_e32 v22, v22, v42, vcc
	v_cndmask_b32_e32 v23, v23, v43, vcc
	v_fma_f64 v[42:43], s[14:15], v[10:11], v[26:27]
	v_fma_f64 v[42:43], v[10:11], v[42:43], s[16:17]
	v_fma_f64 v[42:43], v[10:11], v[42:43], s[18:19]
	v_bitop3_b32 v23, v23, v36, s26 bitop3:0x78
	v_mul_f64 v[36:37], v[40:41], -v[10:11]
	v_fma_f64 v[42:43], v[10:11], v[42:43], s[20:21]
	v_fma_f64 v[48:49], s[4:5], v[10:11], v[24:25]
	;; [unrolled: 1-line block ×5, first 2 shown]
	v_mul_f64 v[46:47], v[10:11], v[10:11]
	v_cmp_lg_f64_e32 vcc, s[24:25], v[32:33]
	ds_write2_b64 v121, v[4:5], v[68:69] offset1:72
	ds_write2_b64 v121, v[14:15], v[30:31] offset0:144 offset1:216
	v_cndmask_b32_e32 v22, 0, v22, vcc
	v_cndmask_b32_e32 v23, v38, v23, vcc
	s_waitcnt vmcnt(1)
	v_and_b32_e32 v32, 1, v34
	s_waitcnt vmcnt(0)
	v_mul_f64 v[44:45], v[50:51], 0.5
	v_fmac_f64_e32 v[44:45], v[36:37], v[42:43]
	v_fma_f64 v[42:43], v[10:11], v[44:45], -v[50:51]
	v_fmac_f64_e32 v[42:43], s[22:23], v[36:37]
	v_add_f64 v[36:37], v[40:41], -v[42:43]
	v_mul_f64 v[42:43], v[10:11], 0.5
	v_add_f64 v[44:45], -v[42:43], 1.0
	v_fma_f64 v[10:11], v[10:11], v[48:49], s[12:13]
	v_add_f64 v[48:49], -v[44:45], 1.0
	v_add_f64 v[42:43], v[48:49], -v[42:43]
	v_fma_f64 v[40:41], v[40:41], -v[50:51], v[42:43]
	v_fmac_f64_e32 v[40:41], v[46:47], v[10:11]
	v_add_f64 v[10:11], v[44:45], v[40:41]
	v_cmp_eq_u32_e64 s[0:1], 0, v32
	v_lshlrev_b32_e32 v32, 30, v34
	v_xor_b32_e32 v32, v32, v33
	v_cndmask_b32_e64 v11, v11, v37, s[0:1]
	v_cndmask_b32_e64 v10, v10, v36, s[0:1]
	v_bitop3_b32 v11, v11, v32, s26 bitop3:0x78
	v_cndmask_b32_e32 v10, 0, v10, vcc
	v_cndmask_b32_e32 v11, v38, v11, vcc
	v_mul_f64 v[32:33], v[8:9], v[10:11]
	v_mul_f64 v[10:11], v[20:21], v[10:11]
	v_fmac_f64_e32 v[32:33], v[20:21], v[22:23]
	v_fma_f64 v[8:9], v[8:9], v[22:23], -v[10:11]
	v_add_f64 v[22:23], v[16:17], v[18:19]
	v_mul_f64 v[16:17], v[6:7], 0.5
	v_fma_f64 v[40:41], s[4:5], v[6:7], v[24:25]
	v_add_f64 v[18:19], -v[16:17], 1.0
	v_fma_f64 v[40:41], v[6:7], v[40:41], s[6:7]
	v_fma_f64 v[40:41], v[6:7], v[40:41], s[8:9]
	v_add_f64 v[42:43], -v[18:19], 1.0
	v_fma_f64 v[40:41], v[6:7], v[40:41], s[10:11]
	v_add_f64 v[16:17], v[42:43], -v[16:17]
	v_mul_f64 v[36:37], v[6:7], v[6:7]
	v_fma_f64 v[40:41], v[6:7], v[40:41], s[12:13]
	v_fma_f64 v[16:17], v[94:95], -v[96:97], v[16:17]
	v_fmac_f64_e32 v[16:17], v[36:37], v[40:41]
	v_fma_f64 v[36:37], s[14:15], v[6:7], v[26:27]
	v_fma_f64 v[36:37], v[6:7], v[36:37], s[16:17]
	;; [unrolled: 1-line block ×3, first 2 shown]
	v_add_f64 v[16:17], v[18:19], v[16:17]
	v_mul_f64 v[18:19], v[94:95], -v[6:7]
	v_fma_f64 v[36:37], v[6:7], v[36:37], s[20:21]
	v_mul_f64 v[40:41], v[96:97], 0.5
	v_fmac_f64_e32 v[40:41], v[18:19], v[36:37]
	v_fma_f64 v[6:7], v[6:7], v[40:41], -v[96:97]
	v_fmac_f64_e32 v[6:7], s[22:23], v[18:19]
	v_add_f64 v[6:7], v[94:95], -v[6:7]
	v_xor_b32_e32 v7, 0x80000000, v7
	v_cmp_eq_u32_e32 vcc, 0, v39
	v_add_f64 v[20:21], v[108:109], -v[106:107]
	v_add_f64 v[10:11], v[98:99], -v[104:105]
	v_cndmask_b32_e32 v6, v6, v16, vcc
	v_cndmask_b32_e32 v7, v7, v17, vcc
	v_lshlrev_b32_e32 v16, 30, v126
	v_bitop3_b32 v7, v7, v16, s26 bitop3:0x78
	v_mul_f64 v[16:17], v[100:101], v[100:101]
	v_mul_f64 v[18:19], v[16:17], 0.5
	v_fmac_f64_e32 v[24:25], s[4:5], v[16:17]
	v_add_f64 v[36:37], -v[18:19], 1.0
	v_fma_f64 v[24:25], v[16:17], v[24:25], s[6:7]
	v_add_f64 v[40:41], -v[36:37], 1.0
	v_fma_f64 v[24:25], v[16:17], v[24:25], s[8:9]
	v_add_f64 v[18:19], v[40:41], -v[18:19]
	v_fma_f64 v[24:25], v[16:17], v[24:25], s[10:11]
	v_mul_f64 v[40:41], v[16:17], v[16:17]
	v_fma_f64 v[24:25], v[16:17], v[24:25], s[12:13]
	v_fma_f64 v[18:19], v[100:101], -v[102:103], v[18:19]
	v_fmac_f64_e32 v[26:27], s[14:15], v[16:17]
	v_fmac_f64_e32 v[18:19], v[40:41], v[24:25]
	v_fma_f64 v[24:25], v[16:17], v[26:27], s[16:17]
	v_fma_f64 v[24:25], v[16:17], v[24:25], s[18:19]
	v_add_f64 v[18:19], v[36:37], v[18:19]
	v_fma_f64 v[24:25], v[16:17], v[24:25], s[20:21]
	v_mul_f64 v[26:27], v[100:101], -v[16:17]
	v_mul_f64 v[36:37], v[102:103], 0.5
	v_fmac_f64_e32 v[36:37], v[26:27], v[24:25]
	v_fma_f64 v[16:17], v[16:17], v[36:37], -v[102:103]
	v_fmac_f64_e32 v[16:17], s[22:23], v[26:27]
	v_and_b32_e32 v24, 1, v127
	v_add_f64 v[16:17], v[100:101], -v[16:17]
	v_cmp_eq_u32_e64 s[0:1], 0, v24
	v_cmp_lg_f64_e32 vcc, s[24:25], v[66:67]
	s_nop 0
	v_cndmask_b32_e64 v16, v18, v16, s[0:1]
	v_lshlrev_b32_e32 v18, 30, v127
	v_cndmask_b32_e64 v17, v19, v17, s[0:1]
	v_xor_b32_e32 v18, v18, v67
	v_bitop3_b32 v17, v17, v18, s26 bitop3:0x78
	v_cndmask_b32_e32 v16, 0, v16, vcc
	v_cndmask_b32_e32 v17, v38, v17, vcc
	v_cndmask_b32_e32 v6, 0, v6, vcc
	v_cndmask_b32_e32 v7, v38, v7, vcc
	v_mul_f64 v[24:25], v[20:21], v[16:17]
	v_mul_f64 v[18:19], v[10:11], v[16:17]
	v_fmac_f64_e32 v[24:25], v[10:11], v[6:7]
	v_add_u32_e32 v10, 0x800, v121
	v_fma_f64 v[18:19], v[20:21], v[6:7], -v[18:19]
	ds_write2_b64 v10, v[8:9], v[78:79] offset0:32 offset1:104
	ds_write2_b64 v10, v[2:3], v[18:19] offset0:176 offset1:248
	s_waitcnt lgkmcnt(0)
	s_barrier
	scratch_load_dword v2, off, off offset:8 ; 4-byte Folded Reload
	scratch_load_dword v3, off, off offset:12 ; 4-byte Folded Reload
	s_waitcnt vmcnt(1)
	v_mul_u32_u24_e32 v2, 0x240, v2
	s_waitcnt vmcnt(0)
	v_lshl_or_b32 v30, v3, 3, v2
	ds_read2_b64 v[2:5], v30 offset1:8
	ds_read2_b64 v[6:9], v30 offset0:16 offset1:24
	ds_read2_b64 v[14:17], v30 offset0:32 offset1:40
	;; [unrolled: 1-line block ×3, first 2 shown]
	s_waitcnt lgkmcnt(0)
	s_barrier
	ds_write2_b64 v121, v[22:23], v[64:65] offset1:72
	ds_write2_b64 v121, v[12:13], v[28:29] offset0:144 offset1:216
	ds_write2_b64 v10, v[32:33], v[76:77] offset0:32 offset1:104
	;; [unrolled: 1-line block ×3, first 2 shown]
	s_waitcnt lgkmcnt(0)
	s_barrier
	ds_read2_b64 v[10:13], v30 offset1:8
	ds_read2_b64 v[22:25], v30 offset0:32 offset1:40
	ds_read2_b64 v[26:29], v30 offset0:16 offset1:24
	;; [unrolled: 1-line block ×3, first 2 shown]
	v_add_f64 v[0:1], v[2:3], v[14:15]
	v_add_f64 v[2:3], v[2:3], -v[14:15]
	s_waitcnt lgkmcnt(2)
	v_add_f64 v[36:37], v[10:11], v[22:23]
	v_add_f64 v[10:11], v[10:11], -v[22:23]
	v_add_f64 v[14:15], v[4:5], v[16:17]
	v_add_f64 v[22:23], v[12:13], v[24:25]
	v_add_f64 v[4:5], v[4:5], -v[16:17]
	v_add_f64 v[12:13], v[12:13], -v[24:25]
	v_add_f64 v[16:17], v[6:7], v[18:19]
	s_waitcnt lgkmcnt(0)
	v_add_f64 v[24:25], v[26:27], v[30:31]
	v_add_f64 v[6:7], v[6:7], -v[18:19]
	v_add_f64 v[18:19], v[26:27], -v[30:31]
	v_add_f64 v[26:27], v[8:9], v[20:21]
	v_add_f64 v[30:31], v[28:29], v[32:33]
	v_add_f64 v[8:9], v[8:9], -v[20:21]
	v_add_f64 v[20:21], v[28:29], -v[32:33]
	v_add_f64 v[28:29], v[4:5], -v[12:13]
	v_add_f64 v[4:5], v[4:5], v[12:13]
	v_fma_f64 v[12:13], v[6:7], 0, -v[18:19]
	v_fmac_f64_e32 v[6:7], 0, v[18:19]
	v_add_f64 v[18:19], -v[8:9], -v[20:21]
	v_add_f64 v[8:9], v[8:9], -v[20:21]
	v_add_f64 v[20:21], v[0:1], v[16:17]
	v_add_f64 v[32:33], v[36:37], v[24:25]
	v_add_f64 v[0:1], v[0:1], -v[16:17]
	v_add_f64 v[16:17], v[36:37], -v[24:25]
	v_add_f64 v[24:25], v[14:15], v[26:27]
	v_add_f64 v[36:37], v[22:23], v[30:31]
	v_add_f64 v[14:15], v[14:15], -v[26:27]
	v_add_f64 v[22:23], v[22:23], -v[30:31]
	v_mul_f64 v[18:19], v[18:19], s[2:3]
	v_mul_f64 v[8:9], v[8:9], s[2:3]
	v_fma_f64 v[26:27], v[14:15], 0, -v[22:23]
	v_fmac_f64_e32 v[14:15], 0, v[22:23]
	v_add_f64 v[22:23], v[20:21], v[24:25]
	v_add_f64 v[30:31], v[32:33], v[36:37]
	v_add_f64 v[20:21], v[20:21], -v[24:25]
	v_add_f64 v[24:25], v[32:33], -v[36:37]
	v_add_f64 v[32:33], v[0:1], v[26:27]
	v_add_f64 v[36:37], v[16:17], v[14:15]
	v_add_f64 v[26:27], v[0:1], -v[26:27]
	v_add_f64 v[14:15], v[16:17], -v[14:15]
	;; [unrolled: 4-line block ×3, first 2 shown]
	v_fma_f64 v[10:11], s[2:3], v[28:29], v[18:19]
	v_fma_f64 v[12:13], s[2:3], v[4:5], v[8:9]
	v_fma_f64 v[18:19], v[28:29], s[2:3], -v[18:19]
	v_fma_f64 v[4:5], v[4:5], s[2:3], -v[8:9]
	;; [unrolled: 1-line block ×3, first 2 shown]
	v_add_f64 v[44:45], v[2:3], v[8:9]
	v_add_f64 v[48:49], v[2:3], -v[8:9]
	v_ldexp_f64 v[8:9], v[32:33], -9
	scratch_load_dwordx2 v[32:33], off, off ; 8-byte Folded Reload
	v_fmac_f64_e32 v[18:19], 0, v[4:5]
	v_add_f64 v[28:29], v[0:1], v[10:11]
	v_add_f64 v[38:39], v[16:17], v[12:13]
	v_add_f64 v[40:41], v[0:1], -v[10:11]
	v_add_f64 v[46:47], v[6:7], v[18:19]
	v_ldexp_f64 v[0:1], v[22:23], -9
	v_ldexp_f64 v[2:3], v[30:31], -9
	v_add_f64 v[42:43], v[16:17], -v[12:13]
	v_add_f64 v[50:51], v[6:7], -v[18:19]
	v_ldexp_f64 v[6:7], v[24:25], -9
	v_ldexp_f64 v[10:11], v[36:37], -9
	;; [unrolled: 1-line block ×7, first 2 shown]
	s_waitcnt vmcnt(0)
	global_store_dwordx4 v[32:33], v[0:3], off
	global_store_dwordx4 v[32:33], v[16:19], off offset:1024
	global_store_dwordx4 v[32:33], v[8:11], off offset:2048
	;; [unrolled: 1-line block ×3, first 2 shown]
	scratch_load_dwordx2 v[0:1], off, off offset:200 ; 8-byte Folded Reload
	v_ldexp_f64 v[4:5], v[20:21], -9
	v_ldexp_f64 v[20:21], v[40:41], -9
	;; [unrolled: 1-line block ×6, first 2 shown]
	s_waitcnt vmcnt(0)
	global_store_dwordx4 v[0:1], v[4:7], off
	scratch_load_dwordx2 v[0:1], off, off offset:192 ; 8-byte Folded Reload
	s_waitcnt vmcnt(0)
	global_store_dwordx4 v[0:1], v[20:23], off
	scratch_load_dwordx2 v[0:1], off, off offset:176 ; 8-byte Folded Reload
	;; [unrolled: 3-line block ×3, first 2 shown]
	s_waitcnt vmcnt(0)
	global_store_dwordx4 v[0:1], v[28:31], off
	s_endpgm
	.section	.rodata,"a",@progbits
	.p2align	6, 0x0
	.amdhsa_kernel _Z10ifft1D_512P15HIP_vector_typeIdLj2EE
		.amdhsa_group_segment_fixed_size 4608
		.amdhsa_private_segment_fixed_size 212
		.amdhsa_kernarg_size 8
		.amdhsa_user_sgpr_count 2
		.amdhsa_user_sgpr_dispatch_ptr 0
		.amdhsa_user_sgpr_queue_ptr 0
		.amdhsa_user_sgpr_kernarg_segment_ptr 1
		.amdhsa_user_sgpr_dispatch_id 0
		.amdhsa_user_sgpr_kernarg_preload_length 0
		.amdhsa_user_sgpr_kernarg_preload_offset 0
		.amdhsa_user_sgpr_private_segment_size 0
		.amdhsa_uses_dynamic_stack 0
		.amdhsa_enable_private_segment 1
		.amdhsa_system_sgpr_workgroup_id_x 1
		.amdhsa_system_sgpr_workgroup_id_y 0
		.amdhsa_system_sgpr_workgroup_id_z 0
		.amdhsa_system_sgpr_workgroup_info 0
		.amdhsa_system_vgpr_workitem_id 0
		.amdhsa_next_free_vgpr 128
		.amdhsa_next_free_sgpr 27
		.amdhsa_accum_offset 128
		.amdhsa_reserve_vcc 1
		.amdhsa_float_round_mode_32 0
		.amdhsa_float_round_mode_16_64 0
		.amdhsa_float_denorm_mode_32 3
		.amdhsa_float_denorm_mode_16_64 3
		.amdhsa_dx10_clamp 1
		.amdhsa_ieee_mode 1
		.amdhsa_fp16_overflow 0
		.amdhsa_tg_split 0
		.amdhsa_exception_fp_ieee_invalid_op 0
		.amdhsa_exception_fp_denorm_src 0
		.amdhsa_exception_fp_ieee_div_zero 0
		.amdhsa_exception_fp_ieee_overflow 0
		.amdhsa_exception_fp_ieee_underflow 0
		.amdhsa_exception_fp_ieee_inexact 0
		.amdhsa_exception_int_div_zero 0
	.end_amdhsa_kernel
	.text
.Lfunc_end1:
	.size	_Z10ifft1D_512P15HIP_vector_typeIdLj2EE, .Lfunc_end1-_Z10ifft1D_512P15HIP_vector_typeIdLj2EE
                                        ; -- End function
	.set _Z10ifft1D_512P15HIP_vector_typeIdLj2EE.num_vgpr, 128
	.set _Z10ifft1D_512P15HIP_vector_typeIdLj2EE.num_agpr, 0
	.set _Z10ifft1D_512P15HIP_vector_typeIdLj2EE.numbered_sgpr, 27
	.set _Z10ifft1D_512P15HIP_vector_typeIdLj2EE.num_named_barrier, 0
	.set _Z10ifft1D_512P15HIP_vector_typeIdLj2EE.private_seg_size, 212
	.set _Z10ifft1D_512P15HIP_vector_typeIdLj2EE.uses_vcc, 1
	.set _Z10ifft1D_512P15HIP_vector_typeIdLj2EE.uses_flat_scratch, 0
	.set _Z10ifft1D_512P15HIP_vector_typeIdLj2EE.has_dyn_sized_stack, 0
	.set _Z10ifft1D_512P15HIP_vector_typeIdLj2EE.has_recursion, 0
	.set _Z10ifft1D_512P15HIP_vector_typeIdLj2EE.has_indirect_call, 0
	.section	.AMDGPU.csdata,"",@progbits
; Kernel info:
; codeLenInByte = 34584
; TotalNumSgprs: 33
; NumVgprs: 128
; NumAgprs: 0
; TotalNumVgprs: 128
; ScratchSize: 212
; MemoryBound: 0
; FloatMode: 240
; IeeeMode: 1
; LDSByteSize: 4608 bytes/workgroup (compile time only)
; SGPRBlocks: 4
; VGPRBlocks: 15
; NumSGPRsForWavesPerEU: 33
; NumVGPRsForWavesPerEU: 128
; AccumOffset: 128
; Occupancy: 4
; WaveLimiterHint : 1
; COMPUTE_PGM_RSRC2:SCRATCH_EN: 1
; COMPUTE_PGM_RSRC2:USER_SGPR: 2
; COMPUTE_PGM_RSRC2:TRAP_HANDLER: 0
; COMPUTE_PGM_RSRC2:TGID_X_EN: 1
; COMPUTE_PGM_RSRC2:TGID_Y_EN: 0
; COMPUTE_PGM_RSRC2:TGID_Z_EN: 0
; COMPUTE_PGM_RSRC2:TIDIG_COMP_CNT: 0
; COMPUTE_PGM_RSRC3_GFX90A:ACCUM_OFFSET: 31
; COMPUTE_PGM_RSRC3_GFX90A:TG_SPLIT: 0
	.text
	.p2alignl 6, 3212836864
	.fill 256, 4, 3212836864
	.section	.AMDGPU.gpr_maximums,"",@progbits
	.set amdgpu.max_num_vgpr, 0
	.set amdgpu.max_num_agpr, 0
	.set amdgpu.max_num_sgpr, 0
	.text
	.type	__hip_cuid_e7816b76929e4c09,@object ; @__hip_cuid_e7816b76929e4c09
	.section	.bss,"aw",@nobits
	.globl	__hip_cuid_e7816b76929e4c09
__hip_cuid_e7816b76929e4c09:
	.byte	0                               ; 0x0
	.size	__hip_cuid_e7816b76929e4c09, 1

	.ident	"AMD clang version 22.0.0git (https://github.com/RadeonOpenCompute/llvm-project roc-7.2.4 26084 f58b06dce1f9c15707c5f808fd002e18c2accf7e)"
	.section	".note.GNU-stack","",@progbits
	.addrsig
	.addrsig_sym __hip_cuid_e7816b76929e4c09
	.amdgpu_metadata
---
amdhsa.kernels:
  - .agpr_count:     0
    .args:
      - .address_space:  global
        .offset:         0
        .size:           8
        .value_kind:     global_buffer
    .group_segment_fixed_size: 4608
    .kernarg_segment_align: 8
    .kernarg_segment_size: 8
    .language:       OpenCL C
    .language_version:
      - 2
      - 0
    .max_flat_workgroup_size: 1024
    .name:           _Z9fft1D_512P15HIP_vector_typeIdLj2EE
    .private_segment_fixed_size: 212
    .sgpr_count:     32
    .sgpr_spill_count: 0
    .symbol:         _Z9fft1D_512P15HIP_vector_typeIdLj2EE.kd
    .uniform_work_group_size: 1
    .uses_dynamic_stack: false
    .vgpr_count:     128
    .vgpr_spill_count: 132
    .wavefront_size: 64
  - .agpr_count:     0
    .args:
      - .address_space:  global
        .offset:         0
        .size:           8
        .value_kind:     global_buffer
    .group_segment_fixed_size: 4608
    .kernarg_segment_align: 8
    .kernarg_segment_size: 8
    .language:       OpenCL C
    .language_version:
      - 2
      - 0
    .max_flat_workgroup_size: 1024
    .name:           _Z10ifft1D_512P15HIP_vector_typeIdLj2EE
    .private_segment_fixed_size: 212
    .sgpr_count:     33
    .sgpr_spill_count: 0
    .symbol:         _Z10ifft1D_512P15HIP_vector_typeIdLj2EE.kd
    .uniform_work_group_size: 1
    .uses_dynamic_stack: false
    .vgpr_count:     128
    .vgpr_spill_count: 132
    .wavefront_size: 64
amdhsa.target:   amdgcn-amd-amdhsa--gfx950
amdhsa.version:
  - 1
  - 2
...

	.end_amdgpu_metadata
